;; amdgpu-corpus repo=ROCm/rocFFT kind=compiled arch=gfx1030 opt=O3
	.text
	.amdgcn_target "amdgcn-amd-amdhsa--gfx1030"
	.amdhsa_code_object_version 6
	.protected	fft_rtc_fwd_len3240_factors_3_3_10_6_6_wgs_108_tpt_108_halfLds_dp_ip_CI_unitstride_sbrr_C2R_dirReg ; -- Begin function fft_rtc_fwd_len3240_factors_3_3_10_6_6_wgs_108_tpt_108_halfLds_dp_ip_CI_unitstride_sbrr_C2R_dirReg
	.globl	fft_rtc_fwd_len3240_factors_3_3_10_6_6_wgs_108_tpt_108_halfLds_dp_ip_CI_unitstride_sbrr_C2R_dirReg
	.p2align	8
	.type	fft_rtc_fwd_len3240_factors_3_3_10_6_6_wgs_108_tpt_108_halfLds_dp_ip_CI_unitstride_sbrr_C2R_dirReg,@function
fft_rtc_fwd_len3240_factors_3_3_10_6_6_wgs_108_tpt_108_halfLds_dp_ip_CI_unitstride_sbrr_C2R_dirReg: ; @fft_rtc_fwd_len3240_factors_3_3_10_6_6_wgs_108_tpt_108_halfLds_dp_ip_CI_unitstride_sbrr_C2R_dirReg
; %bb.0:
	s_clause 0x2
	s_load_dwordx4 s[8:11], s[4:5], 0x0
	s_load_dwordx2 s[2:3], s[4:5], 0x50
	s_load_dwordx2 s[12:13], s[4:5], 0x18
	v_mul_u32_u24_e32 v1, 0x25f, v0
	v_mov_b32_e32 v3, 0
	v_add_nc_u32_sdwa v5, s6, v1 dst_sel:DWORD dst_unused:UNUSED_PAD src0_sel:DWORD src1_sel:WORD_1
	v_mov_b32_e32 v1, 0
	v_mov_b32_e32 v6, v3
	v_mov_b32_e32 v2, 0
	s_waitcnt lgkmcnt(0)
	v_cmp_lt_u64_e64 s0, s[10:11], 2
	s_and_b32 vcc_lo, exec_lo, s0
	s_cbranch_vccnz .LBB0_8
; %bb.1:
	s_load_dwordx2 s[0:1], s[4:5], 0x10
	v_mov_b32_e32 v1, 0
	s_add_u32 s6, s12, 8
	v_mov_b32_e32 v2, 0
	s_addc_u32 s7, s13, 0
	s_mov_b64 s[16:17], 1
	s_waitcnt lgkmcnt(0)
	s_add_u32 s14, s0, 8
	s_addc_u32 s15, s1, 0
.LBB0_2:                                ; =>This Inner Loop Header: Depth=1
	s_load_dwordx2 s[18:19], s[14:15], 0x0
                                        ; implicit-def: $vgpr7_vgpr8
	s_mov_b32 s0, exec_lo
	s_waitcnt lgkmcnt(0)
	v_or_b32_e32 v4, s19, v6
	v_cmpx_ne_u64_e32 0, v[3:4]
	s_xor_b32 s1, exec_lo, s0
	s_cbranch_execz .LBB0_4
; %bb.3:                                ;   in Loop: Header=BB0_2 Depth=1
	v_cvt_f32_u32_e32 v4, s18
	v_cvt_f32_u32_e32 v7, s19
	s_sub_u32 s0, 0, s18
	s_subb_u32 s20, 0, s19
	v_fmac_f32_e32 v4, 0x4f800000, v7
	v_rcp_f32_e32 v4, v4
	v_mul_f32_e32 v4, 0x5f7ffffc, v4
	v_mul_f32_e32 v7, 0x2f800000, v4
	v_trunc_f32_e32 v7, v7
	v_fmac_f32_e32 v4, 0xcf800000, v7
	v_cvt_u32_f32_e32 v7, v7
	v_cvt_u32_f32_e32 v4, v4
	v_mul_lo_u32 v8, s0, v7
	v_mul_hi_u32 v9, s0, v4
	v_mul_lo_u32 v10, s20, v4
	v_add_nc_u32_e32 v8, v9, v8
	v_mul_lo_u32 v9, s0, v4
	v_add_nc_u32_e32 v8, v8, v10
	v_mul_hi_u32 v10, v4, v9
	v_mul_lo_u32 v11, v4, v8
	v_mul_hi_u32 v12, v4, v8
	v_mul_hi_u32 v13, v7, v9
	v_mul_lo_u32 v9, v7, v9
	v_mul_hi_u32 v14, v7, v8
	v_mul_lo_u32 v8, v7, v8
	v_add_co_u32 v10, vcc_lo, v10, v11
	v_add_co_ci_u32_e32 v11, vcc_lo, 0, v12, vcc_lo
	v_add_co_u32 v9, vcc_lo, v10, v9
	v_add_co_ci_u32_e32 v9, vcc_lo, v11, v13, vcc_lo
	v_add_co_ci_u32_e32 v10, vcc_lo, 0, v14, vcc_lo
	v_add_co_u32 v8, vcc_lo, v9, v8
	v_add_co_ci_u32_e32 v9, vcc_lo, 0, v10, vcc_lo
	v_add_co_u32 v4, vcc_lo, v4, v8
	v_add_co_ci_u32_e32 v7, vcc_lo, v7, v9, vcc_lo
	v_mul_hi_u32 v8, s0, v4
	v_mul_lo_u32 v10, s20, v4
	v_mul_lo_u32 v9, s0, v7
	v_add_nc_u32_e32 v8, v8, v9
	v_mul_lo_u32 v9, s0, v4
	v_add_nc_u32_e32 v8, v8, v10
	v_mul_hi_u32 v10, v4, v9
	v_mul_lo_u32 v11, v4, v8
	v_mul_hi_u32 v12, v4, v8
	v_mul_hi_u32 v13, v7, v9
	v_mul_lo_u32 v9, v7, v9
	v_mul_hi_u32 v14, v7, v8
	v_mul_lo_u32 v8, v7, v8
	v_add_co_u32 v10, vcc_lo, v10, v11
	v_add_co_ci_u32_e32 v11, vcc_lo, 0, v12, vcc_lo
	v_add_co_u32 v9, vcc_lo, v10, v9
	v_add_co_ci_u32_e32 v9, vcc_lo, v11, v13, vcc_lo
	v_add_co_ci_u32_e32 v10, vcc_lo, 0, v14, vcc_lo
	v_add_co_u32 v8, vcc_lo, v9, v8
	v_add_co_ci_u32_e32 v9, vcc_lo, 0, v10, vcc_lo
	v_add_co_u32 v4, vcc_lo, v4, v8
	v_add_co_ci_u32_e32 v11, vcc_lo, v7, v9, vcc_lo
	v_mul_hi_u32 v13, v5, v4
	v_mad_u64_u32 v[9:10], null, v6, v4, 0
	v_mad_u64_u32 v[7:8], null, v5, v11, 0
	;; [unrolled: 1-line block ×3, first 2 shown]
	v_add_co_u32 v4, vcc_lo, v13, v7
	v_add_co_ci_u32_e32 v7, vcc_lo, 0, v8, vcc_lo
	v_add_co_u32 v4, vcc_lo, v4, v9
	v_add_co_ci_u32_e32 v4, vcc_lo, v7, v10, vcc_lo
	v_add_co_ci_u32_e32 v7, vcc_lo, 0, v12, vcc_lo
	v_add_co_u32 v4, vcc_lo, v4, v11
	v_add_co_ci_u32_e32 v9, vcc_lo, 0, v7, vcc_lo
	v_mul_lo_u32 v10, s19, v4
	v_mad_u64_u32 v[7:8], null, s18, v4, 0
	v_mul_lo_u32 v11, s18, v9
	v_sub_co_u32 v7, vcc_lo, v5, v7
	v_add3_u32 v8, v8, v11, v10
	v_sub_nc_u32_e32 v10, v6, v8
	v_subrev_co_ci_u32_e64 v10, s0, s19, v10, vcc_lo
	v_add_co_u32 v11, s0, v4, 2
	v_add_co_ci_u32_e64 v12, s0, 0, v9, s0
	v_sub_co_u32 v13, s0, v7, s18
	v_sub_co_ci_u32_e32 v8, vcc_lo, v6, v8, vcc_lo
	v_subrev_co_ci_u32_e64 v10, s0, 0, v10, s0
	v_cmp_le_u32_e32 vcc_lo, s18, v13
	v_cmp_eq_u32_e64 s0, s19, v8
	v_cndmask_b32_e64 v13, 0, -1, vcc_lo
	v_cmp_le_u32_e32 vcc_lo, s19, v10
	v_cndmask_b32_e64 v14, 0, -1, vcc_lo
	v_cmp_le_u32_e32 vcc_lo, s18, v7
	;; [unrolled: 2-line block ×3, first 2 shown]
	v_cndmask_b32_e64 v15, 0, -1, vcc_lo
	v_cmp_eq_u32_e32 vcc_lo, s19, v10
	v_cndmask_b32_e64 v7, v15, v7, s0
	v_cndmask_b32_e32 v10, v14, v13, vcc_lo
	v_add_co_u32 v13, vcc_lo, v4, 1
	v_add_co_ci_u32_e32 v14, vcc_lo, 0, v9, vcc_lo
	v_cmp_ne_u32_e32 vcc_lo, 0, v10
	v_cndmask_b32_e32 v8, v14, v12, vcc_lo
	v_cndmask_b32_e32 v10, v13, v11, vcc_lo
	v_cmp_ne_u32_e32 vcc_lo, 0, v7
	v_cndmask_b32_e32 v8, v9, v8, vcc_lo
	v_cndmask_b32_e32 v7, v4, v10, vcc_lo
.LBB0_4:                                ;   in Loop: Header=BB0_2 Depth=1
	s_andn2_saveexec_b32 s0, s1
	s_cbranch_execz .LBB0_6
; %bb.5:                                ;   in Loop: Header=BB0_2 Depth=1
	v_cvt_f32_u32_e32 v4, s18
	s_sub_i32 s1, 0, s18
	v_rcp_iflag_f32_e32 v4, v4
	v_mul_f32_e32 v4, 0x4f7ffffe, v4
	v_cvt_u32_f32_e32 v4, v4
	v_mul_lo_u32 v7, s1, v4
	v_mul_hi_u32 v7, v4, v7
	v_add_nc_u32_e32 v4, v4, v7
	v_mul_hi_u32 v4, v5, v4
	v_mul_lo_u32 v7, v4, s18
	v_add_nc_u32_e32 v8, 1, v4
	v_sub_nc_u32_e32 v7, v5, v7
	v_subrev_nc_u32_e32 v9, s18, v7
	v_cmp_le_u32_e32 vcc_lo, s18, v7
	v_cndmask_b32_e32 v7, v7, v9, vcc_lo
	v_cndmask_b32_e32 v4, v4, v8, vcc_lo
	v_cmp_le_u32_e32 vcc_lo, s18, v7
	v_add_nc_u32_e32 v8, 1, v4
	v_cndmask_b32_e32 v7, v4, v8, vcc_lo
	v_mov_b32_e32 v8, v3
.LBB0_6:                                ;   in Loop: Header=BB0_2 Depth=1
	s_or_b32 exec_lo, exec_lo, s0
	s_load_dwordx2 s[0:1], s[6:7], 0x0
	v_mul_lo_u32 v4, v8, s18
	v_mul_lo_u32 v11, v7, s19
	v_mad_u64_u32 v[9:10], null, v7, s18, 0
	s_add_u32 s16, s16, 1
	s_addc_u32 s17, s17, 0
	s_add_u32 s6, s6, 8
	s_addc_u32 s7, s7, 0
	;; [unrolled: 2-line block ×3, first 2 shown]
	v_add3_u32 v4, v10, v11, v4
	v_sub_co_u32 v5, vcc_lo, v5, v9
	v_sub_co_ci_u32_e32 v4, vcc_lo, v6, v4, vcc_lo
	s_waitcnt lgkmcnt(0)
	v_mul_lo_u32 v6, s1, v5
	v_mul_lo_u32 v4, s0, v4
	v_mad_u64_u32 v[1:2], null, s0, v5, v[1:2]
	v_cmp_ge_u64_e64 s0, s[16:17], s[10:11]
	s_and_b32 vcc_lo, exec_lo, s0
	v_add3_u32 v2, v6, v2, v4
	s_cbranch_vccnz .LBB0_9
; %bb.7:                                ;   in Loop: Header=BB0_2 Depth=1
	v_mov_b32_e32 v5, v7
	v_mov_b32_e32 v6, v8
	s_branch .LBB0_2
.LBB0_8:
	v_mov_b32_e32 v8, v6
	v_mov_b32_e32 v7, v5
.LBB0_9:
	s_lshl_b64 s[0:1], s[10:11], 3
	v_mul_hi_u32 v5, 0x25ed098, v0
	s_add_u32 s0, s12, s0
	s_addc_u32 s1, s13, s1
	s_load_dwordx2 s[0:1], s[0:1], 0x0
	s_load_dwordx2 s[4:5], s[4:5], 0x20
	s_waitcnt lgkmcnt(0)
	v_mul_lo_u32 v3, s0, v8
	v_mul_lo_u32 v4, s1, v7
	v_mad_u64_u32 v[1:2], null, s0, v7, v[1:2]
	v_cmp_gt_u64_e32 vcc_lo, s[4:5], v[7:8]
	v_add3_u32 v2, v4, v2, v3
	v_mul_u32_u24_e32 v3, 0x6c, v5
	v_lshlrev_b64 v[222:223], 4, v[1:2]
	v_sub_nc_u32_e32 v220, v0, v3
	s_and_saveexec_b32 s1, vcc_lo
	s_cbranch_execz .LBB0_13
; %bb.10:
	v_mov_b32_e32 v221, 0
	v_add_co_u32 v0, s0, s2, v222
	v_add_co_ci_u32_e64 v1, s0, s3, v223, s0
	v_lshlrev_b64 v[2:3], 4, v[220:221]
	v_lshl_add_u32 v122, v220, 4, 0
	v_add_co_u32 v66, s0, v0, v2
	v_add_co_ci_u32_e64 v67, s0, v1, v3, s0
	v_add_co_u32 v10, s0, 0x800, v66
	v_add_co_ci_u32_e64 v11, s0, 0, v67, s0
	;; [unrolled: 2-line block ×25, first 2 shown]
	s_clause 0x1d
	global_load_dwordx4 v[2:5], v[66:67], off
	global_load_dwordx4 v[6:9], v[66:67], off offset:1728
	global_load_dwordx4 v[10:13], v[10:11], off offset:1408
	;; [unrolled: 1-line block ×29, first 2 shown]
	v_cmp_eq_u32_e64 s0, 0x6b, v220
	s_waitcnt vmcnt(29)
	ds_write_b128 v122, v[2:5]
	s_waitcnt vmcnt(28)
	ds_write_b128 v122, v[6:9] offset:1728
	s_waitcnt vmcnt(27)
	ds_write_b128 v122, v[10:13] offset:3456
	;; [unrolled: 2-line block ×29, first 2 shown]
	s_and_saveexec_b32 s4, s0
	s_cbranch_execz .LBB0_12
; %bb.11:
	v_add_co_u32 v0, s0, 0xc800, v0
	v_add_co_ci_u32_e64 v1, s0, 0, v1, s0
	v_mov_b32_e32 v220, 0x6b
	global_load_dwordx4 v[0:3], v[0:1], off offset:640
	s_waitcnt vmcnt(0)
	ds_write_b128 v221, v[0:3] offset:51840
.LBB0_12:
	s_or_b32 exec_lo, exec_lo, s4
.LBB0_13:
	s_or_b32 exec_lo, exec_lo, s1
	v_lshlrev_b32_e32 v0, 4, v220
	s_waitcnt lgkmcnt(0)
	s_barrier
	buffer_gl0_inv
	s_add_u32 s1, s8, 0xca50
	v_add_nc_u32_e32 v230, 0, v0
	v_sub_nc_u32_e32 v12, 0, v0
	s_addc_u32 s4, s9, 0
	s_mov_b32 s5, exec_lo
                                        ; implicit-def: $vgpr4_vgpr5
	ds_read_b64 v[6:7], v230
	ds_read_b64 v[8:9], v12 offset:51840
	s_waitcnt lgkmcnt(0)
	v_add_f64 v[0:1], v[6:7], v[8:9]
	v_add_f64 v[2:3], v[6:7], -v[8:9]
	v_cmpx_ne_u32_e32 0, v220
	s_xor_b32 s5, exec_lo, s5
	s_cbranch_execz .LBB0_15
; %bb.14:
	v_mov_b32_e32 v221, 0
	v_add_f64 v[13:14], v[6:7], v[8:9]
	v_add_f64 v[15:16], v[6:7], -v[8:9]
	v_lshlrev_b64 v[0:1], 4, v[220:221]
	v_add_co_u32 v0, s0, s1, v0
	v_add_co_ci_u32_e64 v1, s0, s4, v1, s0
	global_load_dwordx4 v[2:5], v[0:1], off
	ds_read_b64 v[0:1], v12 offset:51848
	ds_read_b64 v[10:11], v230 offset:8
	s_waitcnt lgkmcnt(0)
	v_add_f64 v[6:7], v[0:1], v[10:11]
	v_add_f64 v[0:1], v[10:11], -v[0:1]
	s_waitcnt vmcnt(0)
	v_fma_f64 v[8:9], v[15:16], v[4:5], v[13:14]
	v_fma_f64 v[10:11], -v[15:16], v[4:5], v[13:14]
	v_fma_f64 v[13:14], v[6:7], v[4:5], -v[0:1]
	v_fma_f64 v[4:5], v[6:7], v[4:5], v[0:1]
	v_fma_f64 v[0:1], -v[6:7], v[2:3], v[8:9]
	v_fma_f64 v[6:7], v[6:7], v[2:3], v[10:11]
	v_fma_f64 v[8:9], v[15:16], v[2:3], v[13:14]
	;; [unrolled: 1-line block ×3, first 2 shown]
	v_mov_b32_e32 v4, v220
	v_mov_b32_e32 v5, v221
	ds_write_b128 v12, v[6:9] offset:51840
.LBB0_15:
	s_andn2_saveexec_b32 s0, s5
	s_cbranch_execz .LBB0_17
; %bb.16:
	v_mov_b32_e32 v13, 0
	ds_read_b128 v[4:7], v13 offset:25920
	s_waitcnt lgkmcnt(0)
	v_add_f64 v[8:9], v[4:5], v[4:5]
	v_mul_f64 v[10:11], v[6:7], -2.0
	v_mov_b32_e32 v4, 0
	v_mov_b32_e32 v5, 0
	ds_write_b128 v13, v[8:11] offset:25920
.LBB0_17:
	s_or_b32 exec_lo, exec_lo, s0
	v_lshlrev_b64 v[4:5], 4, v[4:5]
	ds_write_b128 v230, v[0:3]
	v_and_b32_e32 v80, 0xff, v220
	v_add_nc_u16 v111, v220, 0x6c
	v_add_nc_u32_e32 v113, 0xd8, v220
	v_add_nc_u32_e32 v112, 0x144, v220
	v_add_co_u32 v4, s0, s1, v4
	v_add_co_ci_u32_e64 v5, s0, s4, v5, s0
	v_and_b32_e32 v108, 0xff, v111
	v_add_co_u32 v10, s0, 0x800, v4
	global_load_dwordx4 v[6:9], v[4:5], off offset:1728
	v_add_co_ci_u32_e64 v11, s0, 0, v5, s0
	v_add_nc_u32_e32 v114, 0x1b0, v220
	v_add_nc_u32_e32 v109, 0x21c, v220
	;; [unrolled: 1-line block ×3, first 2 shown]
	global_load_dwordx4 v[13:16], v[10:11], off offset:1408
	v_add_co_u32 v10, s0, 0x1000, v4
	v_add_co_ci_u32_e64 v11, s0, 0, v5, s0
	v_add_nc_u32_e32 v216, 0x2f4, v220
	v_add_nc_u32_e32 v217, 0x360, v220
	v_add_nc_u32_e32 v218, 0x3cc, v220
	global_load_dwordx4 v[17:20], v[10:11], off offset:1088
	v_add_co_u32 v10, s0, 0x1800, v4
	v_add_co_ci_u32_e64 v11, s0, 0, v5, s0
	ds_read_b128 v[0:3], v230 offset:1728
	ds_read_b128 v[21:24], v12 offset:50112
	s_mov_b32 s4, 0xe8584caa
	s_mov_b32 s5, 0x3febb67a
	global_load_dwordx4 v[25:28], v[10:11], off offset:768
	s_mov_b32 s7, 0xbfebb67a
	s_mov_b32 s6, s4
	v_mov_b32_e32 v110, 5
	s_mov_b32 s10, 0x134454ff
	s_mov_b32 s11, 0x3fee6f0e
	;; [unrolled: 1-line block ×12, first 2 shown]
	s_waitcnt lgkmcnt(0)
	v_add_f64 v[10:11], v[0:1], v[21:22]
	v_add_f64 v[29:30], v[23:24], v[2:3]
	v_add_f64 v[21:22], v[0:1], -v[21:22]
	v_add_f64 v[0:1], v[2:3], -v[23:24]
	s_waitcnt vmcnt(3)
	v_fma_f64 v[2:3], v[21:22], v[8:9], v[10:11]
	v_fma_f64 v[23:24], v[29:30], v[8:9], v[0:1]
	v_fma_f64 v[10:11], -v[21:22], v[8:9], v[10:11]
	v_fma_f64 v[31:32], v[29:30], v[8:9], -v[0:1]
	v_fma_f64 v[0:1], -v[29:30], v[6:7], v[2:3]
	v_fma_f64 v[2:3], v[21:22], v[6:7], v[23:24]
	v_fma_f64 v[8:9], v[29:30], v[6:7], v[10:11]
	;; [unrolled: 1-line block ×3, first 2 shown]
	v_add_co_u32 v21, s0, 0x2000, v4
	v_add_co_ci_u32_e64 v22, s0, 0, v5, s0
	ds_write_b128 v230, v[0:3] offset:1728
	ds_write_b128 v12, v[8:11] offset:50112
	ds_read_b128 v[0:3], v230 offset:3456
	ds_read_b128 v[6:9], v12 offset:48384
	global_load_dwordx4 v[21:24], v[21:22], off offset:448
	s_waitcnt lgkmcnt(0)
	v_add_f64 v[10:11], v[0:1], v[6:7]
	v_add_f64 v[29:30], v[8:9], v[2:3]
	v_add_f64 v[31:32], v[0:1], -v[6:7]
	v_add_f64 v[0:1], v[2:3], -v[8:9]
	s_waitcnt vmcnt(3)
	v_fma_f64 v[2:3], v[31:32], v[15:16], v[10:11]
	v_fma_f64 v[6:7], v[29:30], v[15:16], v[0:1]
	v_fma_f64 v[8:9], -v[31:32], v[15:16], v[10:11]
	v_fma_f64 v[10:11], v[29:30], v[15:16], -v[0:1]
	v_fma_f64 v[0:1], -v[29:30], v[13:14], v[2:3]
	v_fma_f64 v[2:3], v[31:32], v[13:14], v[6:7]
	v_fma_f64 v[6:7], v[29:30], v[13:14], v[8:9]
	v_fma_f64 v[8:9], v[31:32], v[13:14], v[10:11]
	v_add_co_u32 v10, s0, 0x2800, v4
	v_add_co_ci_u32_e64 v11, s0, 0, v5, s0
	ds_write_b128 v230, v[0:3] offset:3456
	ds_write_b128 v12, v[6:9] offset:48384
	ds_read_b128 v[0:3], v230 offset:5184
	ds_read_b128 v[6:9], v12 offset:46656
	global_load_dwordx4 v[13:16], v[10:11], off offset:128
	s_waitcnt lgkmcnt(0)
	v_add_f64 v[29:30], v[0:1], v[6:7]
	v_add_f64 v[31:32], v[8:9], v[2:3]
	v_add_f64 v[33:34], v[0:1], -v[6:7]
	v_add_f64 v[0:1], v[2:3], -v[8:9]
	s_waitcnt vmcnt(3)
	v_fma_f64 v[2:3], v[33:34], v[19:20], v[29:30]
	v_fma_f64 v[6:7], v[31:32], v[19:20], v[0:1]
	v_fma_f64 v[8:9], -v[33:34], v[19:20], v[29:30]
	v_fma_f64 v[19:20], v[31:32], v[19:20], -v[0:1]
	v_fma_f64 v[0:1], -v[31:32], v[17:18], v[2:3]
	v_fma_f64 v[2:3], v[33:34], v[17:18], v[6:7]
	v_fma_f64 v[6:7], v[31:32], v[17:18], v[8:9]
	;; [unrolled: 1-line block ×3, first 2 shown]
	ds_write_b128 v230, v[0:3] offset:5184
	ds_write_b128 v12, v[6:9] offset:46656
	ds_read_b128 v[0:3], v230 offset:6912
	ds_read_b128 v[6:9], v12 offset:44928
	global_load_dwordx4 v[17:20], v[10:11], off offset:1856
	s_waitcnt lgkmcnt(0)
	v_add_f64 v[10:11], v[0:1], v[6:7]
	v_add_f64 v[29:30], v[8:9], v[2:3]
	v_add_f64 v[31:32], v[0:1], -v[6:7]
	v_add_f64 v[0:1], v[2:3], -v[8:9]
	s_waitcnt vmcnt(3)
	v_fma_f64 v[2:3], v[31:32], v[27:28], v[10:11]
	v_fma_f64 v[6:7], v[29:30], v[27:28], v[0:1]
	v_fma_f64 v[8:9], -v[31:32], v[27:28], v[10:11]
	v_fma_f64 v[10:11], v[29:30], v[27:28], -v[0:1]
	v_fma_f64 v[0:1], -v[29:30], v[25:26], v[2:3]
	v_fma_f64 v[2:3], v[31:32], v[25:26], v[6:7]
	v_fma_f64 v[6:7], v[29:30], v[25:26], v[8:9]
	v_fma_f64 v[8:9], v[31:32], v[25:26], v[10:11]
	v_add_co_u32 v10, s0, 0x3000, v4
	v_add_co_ci_u32_e64 v11, s0, 0, v5, s0
	ds_write_b128 v230, v[0:3] offset:6912
	ds_write_b128 v12, v[6:9] offset:44928
	ds_read_b128 v[0:3], v230 offset:8640
	ds_read_b128 v[6:9], v12 offset:43200
	global_load_dwordx4 v[25:28], v[10:11], off offset:1536
	s_waitcnt lgkmcnt(0)
	v_add_f64 v[10:11], v[0:1], v[6:7]
	v_add_f64 v[29:30], v[8:9], v[2:3]
	v_add_f64 v[31:32], v[0:1], -v[6:7]
	v_add_f64 v[0:1], v[2:3], -v[8:9]
	s_waitcnt vmcnt(3)
	v_fma_f64 v[2:3], v[31:32], v[23:24], v[10:11]
	v_fma_f64 v[6:7], v[29:30], v[23:24], v[0:1]
	v_fma_f64 v[8:9], -v[31:32], v[23:24], v[10:11]
	v_fma_f64 v[10:11], v[29:30], v[23:24], -v[0:1]
	v_fma_f64 v[0:1], -v[29:30], v[21:22], v[2:3]
	v_fma_f64 v[2:3], v[31:32], v[21:22], v[6:7]
	v_fma_f64 v[6:7], v[29:30], v[21:22], v[8:9]
	v_fma_f64 v[8:9], v[31:32], v[21:22], v[10:11]
	v_add_co_u32 v10, s0, 0x3800, v4
	v_add_co_ci_u32_e64 v11, s0, 0, v5, s0
	;; [unrolled: 21-line block ×5, first 2 shown]
	ds_write_b128 v230, v[0:3] offset:13824
	ds_write_b128 v12, v[6:9] offset:38016
	ds_read_b128 v[0:3], v230 offset:15552
	ds_read_b128 v[6:9], v12 offset:36288
	global_load_dwordx4 v[25:28], v[10:11], off offset:256
	s_waitcnt lgkmcnt(0)
	v_add_f64 v[29:30], v[0:1], v[6:7]
	v_add_f64 v[31:32], v[8:9], v[2:3]
	v_add_f64 v[33:34], v[0:1], -v[6:7]
	v_add_f64 v[0:1], v[2:3], -v[8:9]
	s_waitcnt vmcnt(3)
	v_fma_f64 v[2:3], v[33:34], v[23:24], v[29:30]
	v_fma_f64 v[6:7], v[31:32], v[23:24], v[0:1]
	v_fma_f64 v[8:9], -v[33:34], v[23:24], v[29:30]
	v_fma_f64 v[23:24], v[31:32], v[23:24], -v[0:1]
	v_fma_f64 v[0:1], -v[31:32], v[21:22], v[2:3]
	v_fma_f64 v[2:3], v[33:34], v[21:22], v[6:7]
	v_fma_f64 v[6:7], v[31:32], v[21:22], v[8:9]
	;; [unrolled: 1-line block ×3, first 2 shown]
	ds_write_b128 v230, v[0:3] offset:15552
	ds_write_b128 v12, v[6:9] offset:36288
	ds_read_b128 v[0:3], v230 offset:17280
	ds_read_b128 v[6:9], v12 offset:34560
	global_load_dwordx4 v[21:24], v[10:11], off offset:1984
	s_waitcnt lgkmcnt(0)
	v_add_f64 v[10:11], v[0:1], v[6:7]
	v_add_f64 v[29:30], v[8:9], v[2:3]
	v_add_f64 v[31:32], v[0:1], -v[6:7]
	v_add_f64 v[0:1], v[2:3], -v[8:9]
	s_waitcnt vmcnt(3)
	v_fma_f64 v[2:3], v[31:32], v[15:16], v[10:11]
	v_fma_f64 v[6:7], v[29:30], v[15:16], v[0:1]
	v_fma_f64 v[8:9], -v[31:32], v[15:16], v[10:11]
	v_fma_f64 v[10:11], v[29:30], v[15:16], -v[0:1]
	v_fma_f64 v[0:1], -v[29:30], v[13:14], v[2:3]
	v_fma_f64 v[2:3], v[31:32], v[13:14], v[6:7]
	v_fma_f64 v[6:7], v[29:30], v[13:14], v[8:9]
	;; [unrolled: 1-line block ×3, first 2 shown]
	v_add_co_u32 v13, s0, 0x5800, v4
	v_add_co_ci_u32_e64 v14, s0, 0, v5, s0
	v_cmp_gt_u32_e64 s0, 0x5a, v220
	ds_write_b128 v230, v[0:3] offset:17280
	ds_write_b128 v12, v[6:9] offset:34560
	ds_read_b128 v[4:7], v230 offset:19008
	ds_read_b128 v[8:11], v12 offset:32832
	global_load_dwordx4 v[0:3], v[13:14], off offset:1664
	s_waitcnt lgkmcnt(0)
	v_add_f64 v[13:14], v[4:5], v[8:9]
	v_add_f64 v[15:16], v[10:11], v[6:7]
	v_add_f64 v[29:30], v[4:5], -v[8:9]
	v_add_f64 v[4:5], v[6:7], -v[10:11]
	s_waitcnt vmcnt(3)
	v_fma_f64 v[6:7], v[29:30], v[19:20], v[13:14]
	v_fma_f64 v[8:9], v[15:16], v[19:20], v[4:5]
	v_fma_f64 v[10:11], -v[29:30], v[19:20], v[13:14]
	v_fma_f64 v[13:14], v[15:16], v[19:20], -v[4:5]
	v_fma_f64 v[4:5], -v[15:16], v[17:18], v[6:7]
	v_fma_f64 v[6:7], v[29:30], v[17:18], v[8:9]
	v_fma_f64 v[8:9], v[15:16], v[17:18], v[10:11]
	;; [unrolled: 1-line block ×3, first 2 shown]
	ds_write_b128 v230, v[4:7] offset:19008
	ds_write_b128 v12, v[8:11] offset:32832
	ds_read_b128 v[4:7], v230 offset:20736
	ds_read_b128 v[8:11], v12 offset:31104
	s_waitcnt lgkmcnt(0)
	v_add_f64 v[13:14], v[4:5], v[8:9]
	v_add_f64 v[15:16], v[10:11], v[6:7]
	v_add_f64 v[17:18], v[4:5], -v[8:9]
	v_add_f64 v[4:5], v[6:7], -v[10:11]
	s_waitcnt vmcnt(2)
	v_fma_f64 v[6:7], v[17:18], v[27:28], v[13:14]
	v_fma_f64 v[8:9], v[15:16], v[27:28], v[4:5]
	v_fma_f64 v[10:11], -v[17:18], v[27:28], v[13:14]
	v_fma_f64 v[13:14], v[15:16], v[27:28], -v[4:5]
	v_fma_f64 v[4:5], -v[15:16], v[25:26], v[6:7]
	v_fma_f64 v[6:7], v[17:18], v[25:26], v[8:9]
	v_fma_f64 v[8:9], v[15:16], v[25:26], v[10:11]
	;; [unrolled: 1-line block ×3, first 2 shown]
	ds_write_b128 v230, v[4:7] offset:20736
	ds_write_b128 v12, v[8:11] offset:31104
	ds_read_b128 v[4:7], v230 offset:22464
	ds_read_b128 v[8:11], v12 offset:29376
	s_waitcnt lgkmcnt(0)
	v_add_f64 v[13:14], v[4:5], v[8:9]
	v_add_f64 v[15:16], v[10:11], v[6:7]
	v_add_f64 v[17:18], v[4:5], -v[8:9]
	v_add_f64 v[4:5], v[6:7], -v[10:11]
	s_waitcnt vmcnt(1)
	v_fma_f64 v[6:7], v[17:18], v[23:24], v[13:14]
	v_fma_f64 v[8:9], v[15:16], v[23:24], v[4:5]
	v_fma_f64 v[10:11], -v[17:18], v[23:24], v[13:14]
	v_fma_f64 v[13:14], v[15:16], v[23:24], -v[4:5]
	v_mul_lo_u16 v23, 0xab, v80
	v_lshrrev_b16 v83, 9, v23
	v_fma_f64 v[4:5], -v[15:16], v[21:22], v[6:7]
	v_fma_f64 v[6:7], v[17:18], v[21:22], v[8:9]
	v_fma_f64 v[8:9], v[15:16], v[21:22], v[10:11]
	;; [unrolled: 1-line block ×3, first 2 shown]
	v_mov_b32_e32 v22, 0xaaab
	ds_write_b128 v230, v[4:7] offset:22464
	ds_write_b128 v12, v[8:11] offset:29376
	ds_read_b128 v[13:16], v230 offset:24192
	ds_read_b128 v[17:20], v12 offset:27648
	v_mul_u32_u24_sdwa v233, v114, v22 dst_sel:DWORD dst_unused:UNUSED_PAD src0_sel:WORD_0 src1_sel:DWORD
	v_mul_u32_u24_sdwa v234, v109, v22 dst_sel:DWORD dst_unused:UNUSED_PAD src0_sel:WORD_0 src1_sel:DWORD
	;; [unrolled: 1-line block ×6, first 2 shown]
	s_waitcnt lgkmcnt(0)
	v_add_f64 v[8:9], v[13:14], v[17:18]
	v_add_f64 v[4:5], v[19:20], v[15:16]
	v_add_f64 v[6:7], v[13:14], -v[17:18]
	v_add_f64 v[10:11], v[15:16], -v[19:20]
	v_mad_u32_u24 v13, v220, 48, 0
	v_add_nc_u32_e32 v219, 0x6548, v13
	v_add_nc_u32_e32 v221, 0x6558, v13
	;; [unrolled: 1-line block ×10, first 2 shown]
	s_waitcnt vmcnt(0)
	v_fma_f64 v[14:15], v[6:7], v[2:3], v[8:9]
	v_fma_f64 v[16:17], v[4:5], v[2:3], v[10:11]
	v_fma_f64 v[18:19], -v[6:7], v[2:3], v[8:9]
	v_fma_f64 v[20:21], v[4:5], v[2:3], -v[10:11]
	v_fma_f64 v[8:9], -v[4:5], v[0:1], v[14:15]
	v_fma_f64 v[10:11], v[6:7], v[0:1], v[16:17]
	v_fma_f64 v[2:3], v[4:5], v[0:1], v[18:19]
	;; [unrolled: 1-line block ×3, first 2 shown]
	v_mul_u32_u24_sdwa v0, v113, v22 dst_sel:DWORD dst_unused:UNUSED_PAD src0_sel:WORD_0 src1_sel:DWORD
	v_mul_u32_u24_sdwa v1, v112, v22 dst_sel:DWORD dst_unused:UNUSED_PAD src0_sel:WORD_0 src1_sel:DWORD
	v_mul_lo_u16 v6, 0xab, v108
	v_mul_lo_u16 v7, v83, 3
	ds_write_b128 v230, v[8:11] offset:24192
	ds_write_b128 v12, v[2:5] offset:27648
	v_lshrrev_b16 v82, 9, v6
	v_sub_nc_u16 v81, v220, v7
	v_lshrrev_b32_e32 v84, 17, v0
	v_lshrrev_b32_e32 v85, 17, v1
	s_waitcnt lgkmcnt(0)
	s_barrier
	buffer_gl0_inv
	s_barrier
	buffer_gl0_inv
	ds_read_b128 v[0:3], v230
	ds_read_b128 v[4:7], v230 offset:34560
	ds_read_b128 v[8:11], v230 offset:17280
	;; [unrolled: 1-line block ×29, first 2 shown]
	s_waitcnt lgkmcnt(27)
	v_add_f64 v[78:79], v[0:1], v[8:9]
	v_add_f64 v[106:107], v[2:3], v[10:11]
	;; [unrolled: 1-line block ×3, first 2 shown]
	v_add_f64 v[141:142], v[10:11], -v[6:7]
	v_add_f64 v[143:144], v[10:11], v[6:7]
	v_add_f64 v[145:146], v[8:9], -v[4:5]
	s_waitcnt lgkmcnt(23)
	v_add_f64 v[8:9], v[18:19], v[26:27]
	v_add_f64 v[10:11], v[20:21], v[28:29]
	s_waitcnt lgkmcnt(21)
	v_add_f64 v[147:148], v[26:27], v[34:35]
	v_add_f64 v[149:150], v[28:29], -v[36:37]
	v_add_f64 v[151:152], v[28:29], v[36:37]
	v_add_f64 v[153:154], v[26:27], -v[34:35]
	v_add_f64 v[26:27], v[22:23], v[30:31]
	v_add_f64 v[28:29], v[24:25], v[32:33]
	s_waitcnt lgkmcnt(20)
	v_add_f64 v[155:156], v[30:31], v[38:39]
	v_add_f64 v[161:162], v[30:31], -v[38:39]
	s_waitcnt lgkmcnt(17)
	v_add_f64 v[30:31], v[42:43], v[50:51]
	s_waitcnt lgkmcnt(15)
	v_add_f64 v[163:164], v[50:51], v[58:59]
	v_add_f64 v[167:168], v[50:51], -v[58:59]
	v_add_f64 v[50:51], v[46:47], v[54:55]
	v_add_f64 v[157:158], v[32:33], -v[40:41]
	v_add_f64 v[159:160], v[32:33], v[40:41]
	v_add_f64 v[32:33], v[44:45], v[52:53]
	v_add_f64 v[165:166], v[52:53], -v[60:61]
	v_add_f64 v[52:53], v[52:53], v[60:61]
	v_add_f64 v[169:170], v[48:49], v[56:57]
	s_waitcnt lgkmcnt(14)
	v_add_f64 v[171:172], v[54:55], v[62:63]
	v_add_f64 v[173:174], v[56:57], v[64:65]
	s_waitcnt lgkmcnt(9)
	v_add_f64 v[179:180], v[74:75], v[90:91]
	v_add_f64 v[177:178], v[68:69], v[76:77]
	v_add_f64 v[181:182], v[76:77], -v[92:93]
	v_add_f64 v[76:77], v[76:77], v[92:93]
	s_waitcnt lgkmcnt(8)
	v_add_f64 v[187:188], v[86:87], v[94:95]
	v_add_f64 v[189:190], v[88:89], v[96:97]
	v_add_f64 v[175:176], v[54:55], -v[62:63]
	v_add_f64 v[54:55], v[66:67], v[74:75]
	s_waitcnt lgkmcnt(1)
	v_add_f64 v[195:196], v[115:116], v[131:132]
	v_add_f64 v[197:198], v[117:118], v[133:134]
	;; [unrolled: 1-line block ×9, first 2 shown]
	s_waitcnt lgkmcnt(0)
	v_add_f64 v[203:204], v[119:120], v[135:136]
	v_add_f64 v[205:206], v[121:122], v[137:138]
	;; [unrolled: 1-line block ×5, first 2 shown]
	v_fma_f64 v[38:39], v[139:140], -0.5, v[0:1]
	v_fma_f64 v[40:41], v[143:144], -0.5, v[2:3]
	v_add_f64 v[8:9], v[8:9], v[34:35]
	v_add_f64 v[30:31], v[30:31], v[58:59]
	;; [unrolled: 1-line block ×3, first 2 shown]
	v_fma_f64 v[50:51], v[147:148], -0.5, v[18:19]
	v_fma_f64 v[58:59], v[151:152], -0.5, v[20:21]
	v_add_f64 v[32:33], v[32:33], v[60:61]
	v_fma_f64 v[60:61], v[155:156], -0.5, v[22:23]
	v_fma_f64 v[62:63], v[159:160], -0.5, v[24:25]
	v_add_f64 v[56:57], v[56:57], -v[64:65]
	v_add_f64 v[10:11], v[10:11], v[36:37]
	v_add_f64 v[36:37], v[169:170], v[64:65]
	v_fma_f64 v[64:65], v[163:164], -0.5, v[42:43]
	v_fma_f64 v[52:53], v[52:53], -0.5, v[44:45]
	v_add_f64 v[4:5], v[78:79], v[4:5]
	v_add_f64 v[6:7], v[106:107], v[6:7]
	v_fma_f64 v[78:79], v[171:172], -0.5, v[46:47]
	v_fma_f64 v[106:107], v[173:174], -0.5, v[48:49]
	;; [unrolled: 1-line block ×3, first 2 shown]
	v_add_f64 v[74:75], v[74:75], -v[90:91]
	v_fma_f64 v[68:69], v[76:77], -0.5, v[68:69]
	v_add_f64 v[88:89], v[88:89], -v[96:97]
	v_fma_f64 v[70:71], v[187:188], -0.5, v[70:71]
	;; [unrolled: 2-line block ×3, first 2 shown]
	v_add_f64 v[90:91], v[54:55], v[90:91]
	v_add_f64 v[117:118], v[117:118], -v[133:134]
	v_fma_f64 v[98:99], v[195:196], -0.5, v[98:99]
	v_add_f64 v[115:116], v[115:116], -v[131:132]
	v_fma_f64 v[100:101], v[197:198], -0.5, v[100:101]
	v_add_f64 v[207:208], v[14:15], v[127:128]
	v_add_f64 v[127:128], v[127:128], -v[123:124]
	v_fma_f64 v[139:140], v[213:214], -0.5, v[16:17]
	v_add_f64 v[209:210], v[16:17], v[129:130]
	v_add_f64 v[121:122], v[121:122], -v[137:138]
	v_add_f64 v[119:120], v[119:120], -v[135:136]
	;; [unrolled: 1-line block ×3, first 2 shown]
	v_add_f64 v[76:77], v[183:184], v[94:95]
	v_add_f64 v[94:95], v[185:186], v[96:97]
	;; [unrolled: 1-line block ×6, first 2 shown]
	v_fma_f64 v[102:103], v[203:204], -0.5, v[102:103]
	v_fma_f64 v[104:105], v[205:206], -0.5, v[104:105]
	;; [unrolled: 1-line block ×3, first 2 shown]
	v_fma_f64 v[0:1], v[141:142], s[4:5], v[38:39]
	v_fma_f64 v[2:3], v[145:146], s[6:7], v[40:41]
	;; [unrolled: 1-line block ×20, first 2 shown]
	s_barrier
	buffer_gl0_inv
	v_add_f64 v[92:93], v[177:178], v[92:93]
	ds_write_b128 v13, v[4:7]
	ds_write_b128 v13, v[8:11] offset:5184
	ds_write_b128 v13, v[26:29] offset:10368
	;; [unrolled: 1-line block ×4, first 2 shown]
	ds_write_b64 v13, v[90:91] offset:25920
	v_fma_f64 v[4:5], v[181:182], s[4:5], v[66:67]
	v_fma_f64 v[6:7], v[181:182], s[6:7], v[66:67]
	;; [unrolled: 1-line block ×8, first 2 shown]
	v_mul_lo_u16 v239, v82, 3
	v_fma_f64 v[34:35], v[117:118], s[4:5], v[98:99]
	v_fma_f64 v[36:37], v[117:118], s[6:7], v[98:99]
	;; [unrolled: 1-line block ×4, first 2 shown]
	v_lshlrev_b32_sdwa v240, v110, v81 dst_sel:DWORD dst_unused:UNUSED_PAD src0_sel:DWORD src1_sel:BYTE_0
	v_fma_f64 v[86:87], v[127:128], s[6:7], v[139:140]
	v_add_f64 v[123:124], v[207:208], v[123:124]
	v_add_f64 v[125:126], v[209:210], v[125:126]
	v_fma_f64 v[66:67], v[121:122], s[4:5], v[102:103]
	v_fma_f64 v[68:69], v[121:122], s[6:7], v[102:103]
	;; [unrolled: 1-line block ×7, first 2 shown]
	ds_write_b64 v13, v[76:77] offset:31104
	ds_write_b128 v13, v[0:3] offset:16
	ds_write_b128 v13, v[14:17] offset:32
	;; [unrolled: 1-line block ×10, first 2 shown]
	ds_write2_b64 v219, v[92:93], v[4:5] offset1:1
	ds_write2_b64 v221, v[8:9], v[6:7] offset1:1
	ds_write_b64 v13, v[10:11] offset:25960
	ds_write2_b64 v224, v[94:95], v[26:27] offset1:1
	ds_write2_b64 v225, v[30:31], v[28:29] offset1:1
	ds_write_b64 v13, v[32:33] offset:31144
	ds_write_b64 v13, v[96:97] offset:36288
	ds_write2_b64 v226, v[131:132], v[34:35] offset1:1
	ds_write2_b64 v227, v[62:63], v[36:37] offset1:1
	ds_write_b64 v13, v[64:65] offset:36328
	;; [unrolled: 4-line block ×4, first 2 shown]
	v_mul_lo_u16 v0, v84, 3
	v_sub_nc_u16 v86, v111, v239
	v_lshrrev_b32_e32 v89, 17, v233
	v_mul_lo_u16 v1, v85, 3
	s_waitcnt lgkmcnt(0)
	s_barrier
	buffer_gl0_inv
	global_load_dwordx4 v[68:71], v240, s[8:9]
	v_sub_nc_u16 v87, v113, v0
	v_lshlrev_b32_sdwa v0, v110, v86 dst_sel:DWORD dst_unused:UNUSED_PAD src0_sel:DWORD src1_sel:BYTE_0
	v_lshrrev_b32_e32 v91, 17, v234
	v_mul_lo_u16 v2, v89, 3
	global_load_dwordx4 v[64:67], v240, s[8:9] offset:16
	v_sub_nc_u16 v88, v112, v1
	s_clause 0x1
	global_load_dwordx4 v[72:75], v0, s[8:9]
	global_load_dwordx4 v[60:63], v0, s[8:9] offset:16
	v_lshlrev_b32_sdwa v1, v110, v87 dst_sel:DWORD dst_unused:UNUSED_PAD src0_sel:DWORD src1_sel:WORD_0
	v_sub_nc_u16 v90, v114, v2
	v_mul_lo_u16 v2, v91, 3
	v_lshlrev_b32_sdwa v0, v110, v88 dst_sel:DWORD dst_unused:UNUSED_PAD src0_sel:DWORD src1_sel:WORD_0
	v_lshrrev_b32_e32 v92, 17, v235
	s_clause 0x1
	global_load_dwordx4 v[52:55], v1, s[8:9]
	global_load_dwordx4 v[20:23], v1, s[8:9] offset:16
	v_sub_nc_u16 v93, v109, v2
	v_lshrrev_b32_e32 v95, 17, v236
	global_load_dwordx4 v[4:7], v0, s[8:9]
	v_mul_lo_u16 v13, v92, 3
	v_lshrrev_b32_e32 v97, 17, v237
	v_lshrrev_b32_e32 v99, 17, v238
	v_lshlrev_b32_sdwa v24, v110, v93 dst_sel:DWORD dst_unused:UNUSED_PAD src0_sel:DWORD src1_sel:WORD_0
	v_mul_lo_u16 v25, v95, 3
	v_lshlrev_b32_sdwa v12, v110, v90 dst_sel:DWORD dst_unused:UNUSED_PAD src0_sel:DWORD src1_sel:WORD_0
	v_sub_nc_u16 v94, v215, v13
	v_mul_lo_u16 v33, v97, 3
	global_load_dwordx4 v[16:19], v24, s[8:9]
	v_mul_lo_u16 v37, v99, 3
	s_clause 0x1
	global_load_dwordx4 v[0:3], v0, s[8:9] offset:16
	global_load_dwordx4 v[8:11], v12, s[8:9]
	v_sub_nc_u16 v96, v216, v25
	global_load_dwordx4 v[12:15], v12, s[8:9] offset:16
	v_lshlrev_b32_sdwa v32, v110, v94 dst_sel:DWORD dst_unused:UNUSED_PAD src0_sel:DWORD src1_sel:WORD_0
	v_sub_nc_u16 v98, v217, v33
	v_sub_nc_u16 v100, v218, v37
	v_lshlrev_b32_sdwa v36, v110, v96 dst_sel:DWORD dst_unused:UNUSED_PAD src0_sel:DWORD src1_sel:WORD_0
	s_clause 0x3
	global_load_dwordx4 v[28:31], v24, s[8:9] offset:16
	global_load_dwordx4 v[24:27], v32, s[8:9]
	global_load_dwordx4 v[40:43], v32, s[8:9] offset:16
	global_load_dwordx4 v[32:35], v36, s[8:9]
	v_lshlrev_b32_sdwa v48, v110, v98 dst_sel:DWORD dst_unused:UNUSED_PAD src0_sel:DWORD src1_sel:WORD_0
	v_lshlrev_b32_sdwa v76, v110, v100 dst_sel:DWORD dst_unused:UNUSED_PAD src0_sel:DWORD src1_sel:WORD_0
	s_clause 0x4
	global_load_dwordx4 v[44:47], v36, s[8:9] offset:16
	global_load_dwordx4 v[36:39], v48, s[8:9]
	global_load_dwordx4 v[48:51], v48, s[8:9] offset:16
	global_load_dwordx4 v[56:59], v76, s[8:9]
	global_load_dwordx4 v[76:79], v76, s[8:9] offset:16
	v_mul_lo_u16 v101, v80, 57
	v_mov_b32_e32 v102, 0x90
	v_mov_b32_e32 v115, 4
	;; [unrolled: 1-line block ×3, first 2 shown]
	v_mul_u32_u24_e32 v84, 0x90, v84
	v_lshrrev_b16 v109, 9, v101
	v_mul_u32_u24_sdwa v83, v83, v102 dst_sel:DWORD dst_unused:UNUSED_PAD src0_sel:WORD_0 src1_sel:DWORD
	v_lshlrev_b32_sdwa v81, v115, v81 dst_sel:DWORD dst_unused:UNUSED_PAD src0_sel:DWORD src1_sel:BYTE_0
	v_mul_u32_u24_e32 v85, 0x90, v85
	v_mul_u32_u24_e32 v89, 0x90, v89
	v_mul_lo_u16 v101, v109, 9
	v_mul_u32_u24_e32 v91, 0x90, v91
	v_mul_u32_u24_e32 v92, 0x90, v92
	;; [unrolled: 1-line block ×4, first 2 shown]
	v_sub_nc_u16 v116, v220, v101
	v_mul_u32_u24_e32 v99, 0x90, v99
	v_mul_u32_u24_sdwa v82, v82, v102 dst_sel:DWORD dst_unused:UNUSED_PAD src0_sel:WORD_0 src1_sel:DWORD
	v_lshlrev_b32_sdwa v87, v115, v87 dst_sel:DWORD dst_unused:UNUSED_PAD src0_sel:DWORD src1_sel:WORD_0
	v_lshlrev_b32_sdwa v88, v115, v88 dst_sel:DWORD dst_unused:UNUSED_PAD src0_sel:DWORD src1_sel:WORD_0
	;; [unrolled: 1-line block ×8, first 2 shown]
	v_mul_u32_u24_sdwa v101, v116, v80 dst_sel:DWORD dst_unused:UNUSED_PAD src0_sel:BYTE_0 src1_sel:DWORD
	v_add3_u32 v219, 0, v83, v81
	v_lshlrev_b32_sdwa v83, v115, v86 dst_sel:DWORD dst_unused:UNUSED_PAD src0_sel:DWORD src1_sel:BYTE_0
	v_add3_u32 v221, 0, v84, v87
	v_add3_u32 v241, 0, v85, v88
	;; [unrolled: 1-line block ×8, first 2 shown]
	v_lshlrev_b32_e32 v81, 4, v101
	v_add3_u32 v248, 0, v82, v83
	ds_read_b128 v[82:85], v230 offset:17280
	ds_read_b128 v[86:89], v230 offset:34560
	ds_read_b128 v[90:93], v230 offset:19008
	ds_read_b128 v[94:97], v230 offset:20736
	ds_read_b128 v[98:101], v230 offset:36288
	ds_read_b128 v[102:105], v230 offset:38016
	ds_read_b128 v[117:120], v230 offset:22464
	ds_read_b128 v[121:124], v230 offset:24192
	ds_read_b128 v[125:128], v230 offset:39744
	ds_read_b128 v[129:132], v230 offset:41472
	ds_read_b128 v[133:136], v230 offset:25920
	ds_read_b128 v[137:140], v230 offset:27648
	ds_read_b128 v[141:144], v230 offset:43200
	ds_read_b128 v[145:148], v230 offset:44928
	ds_read_b128 v[149:152], v230 offset:29376
	ds_read_b128 v[153:156], v230 offset:31104
	ds_read_b128 v[157:160], v230 offset:46656
	ds_read_b128 v[161:164], v230 offset:48384
	ds_read_b128 v[165:168], v230 offset:32832
	ds_read_b128 v[169:172], v230 offset:50112
	ds_read_b128 v[173:176], v230
	ds_read_b128 v[177:180], v230 offset:1728
	ds_read_b128 v[181:184], v230 offset:3456
	;; [unrolled: 1-line block ×9, first 2 shown]
	s_waitcnt vmcnt(0) lgkmcnt(0)
	s_barrier
	buffer_gl0_inv
	v_lshlrev_b32_sdwa v116, v115, v116 dst_sel:DWORD dst_unused:UNUSED_PAD src0_sel:DWORD src1_sel:BYTE_0
	v_mul_f64 v[106:107], v[84:85], v[70:71]
	v_mul_f64 v[70:71], v[82:83], v[70:71]
	;; [unrolled: 1-line block ×14, first 2 shown]
	v_fma_f64 v[82:83], v[82:83], v[68:69], -v[106:107]
	v_fma_f64 v[68:69], v[84:85], v[68:69], v[70:71]
	v_fma_f64 v[86:87], v[86:87], v[64:65], -v[213:214]
	v_fma_f64 v[64:65], v[88:89], v[64:65], v[66:67]
	v_mul_f64 v[70:71], v[127:128], v[2:3]
	v_mul_f64 v[2:3], v[125:126], v[2:3]
	;; [unrolled: 1-line block ×8, first 2 shown]
	v_fma_f64 v[90:91], v[90:91], v[72:73], -v[215:216]
	v_fma_f64 v[72:73], v[92:93], v[72:73], v[74:75]
	v_mul_f64 v[74:75], v[143:144], v[30:31]
	v_mul_f64 v[30:31], v[141:142], v[30:31]
	v_mul_f64 v[92:93], v[139:140], v[26:27]
	v_mul_f64 v[26:27], v[137:138], v[26:27]
	v_fma_f64 v[98:99], v[98:99], v[60:61], -v[217:218]
	v_fma_f64 v[60:61], v[100:101], v[60:61], v[62:63]
	v_mul_f64 v[62:63], v[147:148], v[42:43]
	v_mul_f64 v[42:43], v[145:146], v[42:43]
	v_mul_f64 v[100:101], v[151:152], v[34:35]
	v_mul_f64 v[34:35], v[149:150], v[34:35]
	;; [unrolled: 6-line block ×4, first 2 shown]
	v_fma_f64 v[106:107], v[117:118], v[4:5], -v[228:229]
	v_fma_f64 v[4:5], v[119:120], v[4:5], v[6:7]
	v_mul_f64 v[6:7], v[171:172], v[78:79]
	v_mul_f64 v[78:79], v[169:170], v[78:79]
	v_fma_f64 v[70:71], v[125:126], v[0:1], -v[70:71]
	v_fma_f64 v[117:118], v[127:128], v[0:1], v[2:3]
	v_fma_f64 v[0:1], v[121:122], v[8:9], -v[84:85]
	v_fma_f64 v[2:3], v[123:124], v[8:9], v[10:11]
	;; [unrolled: 2-line block ×13, first 2 shown]
	v_add_f64 v[6:7], v[82:83], v[86:87]
	v_add_f64 v[48:49], v[68:69], v[64:65]
	;; [unrolled: 1-line block ×11, first 2 shown]
	v_add_f64 v[100:101], v[52:53], -v[20:21]
	v_add_f64 v[52:53], v[106:107], v[70:71]
	v_add_f64 v[104:105], v[4:5], v[117:118]
	v_add_f64 v[119:120], v[0:1], v[66:67]
	v_add_f64 v[121:122], v[2:3], v[84:85]
	v_add_f64 v[123:124], v[8:9], v[74:75]
	v_add_f64 v[125:126], v[10:11], v[28:29]
	v_add_f64 v[96:97], v[181:182], v[94:95]
	v_add_f64 v[139:140], v[12:13], v[24:25]
	v_add_f64 v[141:142], v[14:15], v[26:27]
	v_add_f64 v[147:148], v[16:17], v[32:33]
	v_add_f64 v[149:150], v[18:19], v[30:31]
	v_add_f64 v[68:69], v[68:69], -v[64:65]
	v_add_f64 v[82:83], v[82:83], -v[86:87]
	v_add_f64 v[127:128], v[191:192], v[4:5]
	v_add_f64 v[155:156], v[34:35], v[38:39]
	;; [unrolled: 1-line block ×4, first 2 shown]
	v_add_f64 v[226:227], v[36:37], -v[40:41]
	v_add_f64 v[36:37], v[22:23], v[44:45]
	v_add_f64 v[231:232], v[42:43], v[46:47]
	;; [unrolled: 1-line block ×4, first 2 shown]
	v_add_f64 v[237:238], v[42:43], -v[46:47]
	v_fma_f64 v[42:43], v[6:7], -0.5, v[173:174]
	v_fma_f64 v[48:49], v[48:49], -0.5, v[175:176]
	v_add_f64 v[135:136], v[199:200], v[10:11]
	v_add_f64 v[153:154], v[205:206], v[16:17]
	;; [unrolled: 1-line block ×3, first 2 shown]
	v_add_f64 v[72:73], v[72:73], -v[60:61]
	v_add_f64 v[90:91], v[90:91], -v[98:99]
	v_add_f64 v[131:132], v[195:196], v[2:3]
	v_add_f64 v[133:134], v[193:194], v[0:1]
	v_add_f64 v[165:166], v[2:3], -v[84:85]
	v_add_f64 v[167:168], v[0:1], -v[66:67]
	v_add_f64 v[2:3], v[50:51], v[64:65]
	v_add_f64 v[0:1], v[54:55], v[86:87]
	v_fma_f64 v[50:51], v[56:57], -0.5, v[177:178]
	v_fma_f64 v[54:55], v[58:59], -0.5, v[179:180]
	v_add_f64 v[94:95], v[94:95], -v[102:103]
	v_fma_f64 v[56:57], v[78:79], -0.5, v[181:182]
	v_fma_f64 v[58:59], v[88:89], -0.5, v[183:184]
	v_add_f64 v[129:130], v[189:190], v[106:107]
	v_add_f64 v[163:164], v[4:5], -v[117:118]
	v_add_f64 v[106:107], v[106:107], -v[70:71]
	v_add_f64 v[6:7], v[62:63], v[60:61]
	v_add_f64 v[4:5], v[76:77], v[98:99]
	v_fma_f64 v[62:63], v[52:53], -0.5, v[189:190]
	v_fma_f64 v[76:77], v[104:105], -0.5, v[191:192]
	;; [unrolled: 1-line block ×4, first 2 shown]
	v_add_f64 v[137:138], v[197:198], v[8:9]
	v_add_f64 v[169:170], v[10:11], -v[28:29]
	v_add_f64 v[171:172], v[8:9], -v[74:75]
	v_add_f64 v[10:11], v[92:93], v[20:21]
	v_fma_f64 v[88:89], v[123:124], -0.5, v[197:198]
	v_fma_f64 v[92:93], v[125:126], -0.5, v[199:200]
	v_add_f64 v[143:144], v[203:204], v[14:15]
	v_add_f64 v[145:146], v[201:202], v[12:13]
	v_add_f64 v[213:214], v[14:15], -v[26:27]
	v_add_f64 v[215:216], v[12:13], -v[24:25]
	v_add_f64 v[8:9], v[96:97], v[102:103]
	v_fma_f64 v[96:97], v[139:140], -0.5, v[201:202]
	v_fma_f64 v[98:99], v[141:142], -0.5, v[203:204]
	v_add_f64 v[151:152], v[207:208], v[18:19]
	v_add_f64 v[217:218], v[18:19], -v[30:31]
	v_add_f64 v[224:225], v[16:17], -v[32:33]
	v_fma_f64 v[102:103], v[147:148], -0.5, v[205:206]
	v_fma_f64 v[104:105], v[149:150], -0.5, v[207:208]
	v_add_f64 v[228:229], v[34:35], -v[38:39]
	v_add_f64 v[239:240], v[22:23], -v[44:45]
	v_fma_f64 v[119:120], v[155:156], -0.5, v[209:210]
	v_fma_f64 v[121:122], v[157:158], -0.5, v[211:212]
	v_add_f64 v[14:15], v[127:128], v[117:118]
	v_add_f64 v[34:35], v[159:160], v[40:41]
	v_fma_f64 v[123:124], v[36:37], -0.5, v[185:186]
	v_fma_f64 v[127:128], v[231:232], -0.5, v[187:188]
	v_add_f64 v[36:37], v[235:236], v[44:45]
	v_fma_f64 v[40:41], v[68:69], s[4:5], v[42:43]
	v_fma_f64 v[44:45], v[68:69], s[6:7], v[42:43]
	;; [unrolled: 1-line block ×3, first 2 shown]
	v_add_f64 v[22:23], v[135:136], v[28:29]
	v_add_f64 v[28:29], v[153:154], v[32:33]
	;; [unrolled: 1-line block ×4, first 2 shown]
	v_fma_f64 v[46:47], v[82:83], s[4:5], v[48:49]
	ds_write_b128 v219, v[0:3]
	v_fma_f64 v[0:1], v[72:73], s[4:5], v[50:51]
	v_fma_f64 v[2:3], v[90:91], s[6:7], v[54:55]
	;; [unrolled: 1-line block ×8, first 2 shown]
	v_add_f64 v[12:13], v[129:130], v[70:71]
	v_fma_f64 v[60:61], v[163:164], s[4:5], v[62:63]
	v_fma_f64 v[64:65], v[163:164], s[6:7], v[62:63]
	;; [unrolled: 1-line block ×3, first 2 shown]
	v_add_f64 v[16:17], v[133:134], v[66:67]
	v_fma_f64 v[66:67], v[106:107], s[4:5], v[76:77]
	v_add_f64 v[18:19], v[131:132], v[84:85]
	v_fma_f64 v[68:69], v[165:166], s[4:5], v[78:79]
	v_fma_f64 v[70:71], v[167:168], s[6:7], v[86:87]
	v_add_f64 v[20:21], v[137:138], v[74:75]
	v_fma_f64 v[72:73], v[165:166], s[6:7], v[78:79]
	v_fma_f64 v[74:75], v[167:168], s[4:5], v[86:87]
	;; [unrolled: 1-line block ×6, first 2 shown]
	v_add_f64 v[26:27], v[143:144], v[26:27]
	v_add_f64 v[24:25], v[145:146], v[24:25]
	v_fma_f64 v[86:87], v[213:214], s[4:5], v[96:97]
	v_fma_f64 v[88:89], v[215:216], s[6:7], v[98:99]
	;; [unrolled: 1-line block ×4, first 2 shown]
	v_add_f64 v[30:31], v[151:152], v[30:31]
	v_fma_f64 v[94:95], v[217:218], s[4:5], v[102:103]
	v_fma_f64 v[96:97], v[224:225], s[6:7], v[104:105]
	v_fma_f64 v[98:99], v[217:218], s[6:7], v[102:103]
	v_fma_f64 v[100:101], v[224:225], s[4:5], v[104:105]
	v_fma_f64 v[102:103], v[226:227], s[4:5], v[119:120]
	v_fma_f64 v[117:118], v[226:227], s[6:7], v[119:120]
	v_fma_f64 v[104:105], v[228:229], s[6:7], v[121:122]
	v_fma_f64 v[119:120], v[228:229], s[4:5], v[121:122]
	v_fma_f64 v[121:122], v[237:238], s[4:5], v[123:124]
	v_fma_f64 v[125:126], v[237:238], s[6:7], v[123:124]
	v_fma_f64 v[123:124], v[239:240], s[6:7], v[127:128]
	v_fma_f64 v[127:128], v[239:240], s[4:5], v[127:128]
	ds_write_b128 v219, v[40:43] offset:48
	ds_write_b128 v219, v[44:47] offset:96
	ds_write_b128 v248, v[4:7]
	ds_write_b128 v248, v[0:3] offset:48
	ds_write_b128 v248, v[48:51] offset:96
	ds_write_b128 v221, v[8:11]
	;; [unrolled: 3-line block ×9, first 2 shown]
	ds_write_b128 v247, v[121:124] offset:48
	ds_write_b128 v247, v[125:128] offset:96
	v_mul_lo_u16 v12, v108, 57
	s_waitcnt lgkmcnt(0)
	s_barrier
	buffer_gl0_inv
	s_clause 0x2
	global_load_dwordx4 v[8:11], v81, s[8:9] offset:96
	global_load_dwordx4 v[4:7], v81, s[8:9] offset:112
	;; [unrolled: 1-line block ×3, first 2 shown]
	v_lshrrev_b16 v119, 9, v12
	s_clause 0x3
	global_load_dwordx4 v[20:23], v81, s[8:9] offset:144
	global_load_dwordx4 v[16:19], v81, s[8:9] offset:160
	;; [unrolled: 1-line block ×4, first 2 shown]
	v_mul_lo_u16 v24, v119, 9
	s_clause 0x1
	global_load_dwordx4 v[68:71], v81, s[8:9] offset:208
	global_load_dwordx4 v[64:67], v81, s[8:9] offset:224
	v_mov_b32_e32 v122, 0x5a0
	v_add_nc_u32_e32 v117, 0xffffffa6, v220
	v_sub_nc_u16 v118, v111, v24
	v_mov_b32_e32 v24, 0xe38f
	v_mov_b32_e32 v225, 0
	v_mul_u32_u24_sdwa v128, v109, v122 dst_sel:DWORD dst_unused:UNUSED_PAD src0_sel:WORD_0 src1_sel:DWORD
	v_mul_u32_u24_sdwa v122, v119, v122 dst_sel:DWORD dst_unused:UNUSED_PAD src0_sel:WORD_0 src1_sel:DWORD
	v_mul_u32_u24_sdwa v25, v118, v80 dst_sel:DWORD dst_unused:UNUSED_PAD src0_sel:BYTE_0 src1_sel:DWORD
	v_mul_u32_u24_sdwa v24, v113, v24 dst_sel:DWORD dst_unused:UNUSED_PAD src0_sel:WORD_0 src1_sel:DWORD
	v_cndmask_b32_e64 v117, v117, v220, s0
	v_add3_u32 v119, 0, v128, v116
	v_lshlrev_b32_sdwa v118, v115, v118 dst_sel:DWORD dst_unused:UNUSED_PAD src0_sel:DWORD src1_sel:BYTE_0
	v_lshlrev_b32_e32 v32, 4, v25
	v_lshrrev_b32_e32 v120, 19, v24
	s_clause 0x3
	global_load_dwordx4 v[60:63], v32, s[8:9] offset:96
	global_load_dwordx4 v[52:55], v32, s[8:9] offset:112
	;; [unrolled: 1-line block ×4, first 2 shown]
	v_mul_lo_u16 v24, v120, 9
	s_clause 0x1
	global_load_dwordx4 v[40:43], v32, s[8:9] offset:160
	global_load_dwordx4 v[28:31], v32, s[8:9] offset:176
	v_mul_u32_u24_e32 v120, 0x5a0, v120
	v_mul_i32_i24_e32 v224, 5, v117
	v_mul_lo_u16 v123, 0xb7, v108
	v_sub_nc_u16 v121, v113, v24
	s_clause 0x1
	global_load_dwordx4 v[36:39], v32, s[8:9] offset:192
	global_load_dwordx4 v[24:27], v32, s[8:9] offset:208
	v_add3_u32 v118, 0, v122, v118
	v_lshlrev_b64 v[108:109], 4, v[224:225]
	v_mul_u32_u24_sdwa v33, v121, v80 dst_sel:DWORD dst_unused:UNUSED_PAD src0_sel:WORD_0 src1_sel:DWORD
	v_lshlrev_b32_sdwa v121, v115, v121 dst_sel:DWORD dst_unused:UNUSED_PAD src0_sel:DWORD src1_sel:WORD_0
	v_add_co_u32 v108, s0, s8, v108
	v_lshlrev_b32_e32 v104, 4, v33
	s_clause 0x9
	global_load_dwordx4 v[32:35], v32, s[8:9] offset:224
	global_load_dwordx4 v[56:59], v104, s[8:9] offset:96
	;; [unrolled: 1-line block ×10, first 2 shown]
	ds_read_b128 v[124:127], v230 offset:5184
	ds_read_b128 v[128:131], v230 offset:10368
	;; [unrolled: 1-line block ×26, first 2 shown]
	v_add3_u32 v116, 0, v120, v121
	v_add_co_ci_u32_e64 v109, s0, s9, v109, s0
	v_cmp_lt_u32_e64 s0, 0x59, v220
	s_waitcnt vmcnt(26) lgkmcnt(25)
	v_mul_f64 v[120:121], v[126:127], v[10:11]
	s_waitcnt vmcnt(25) lgkmcnt(24)
	v_mul_f64 v[235:236], v[130:131], v[6:7]
	v_mul_f64 v[237:238], v[128:129], v[6:7]
	s_waitcnt vmcnt(24) lgkmcnt(23)
	v_mul_f64 v[239:240], v[134:135], v[2:3]
	s_waitcnt vmcnt(23) lgkmcnt(22)
	v_mul_f64 v[241:242], v[138:139], v[22:23]
	v_mul_f64 v[22:23], v[136:137], v[22:23]
	s_waitcnt vmcnt(22) lgkmcnt(18)
	v_mul_f64 v[243:244], v[154:155], v[18:19]
	v_mul_f64 v[18:19], v[152:153], v[18:19]
	s_waitcnt vmcnt(21)
	v_mul_f64 v[245:246], v[142:143], v[14:15]
	v_mul_f64 v[14:15], v[140:141], v[14:15]
	;; [unrolled: 1-line block ×4, first 2 shown]
	v_fma_f64 v[120:121], v[124:125], v[8:9], -v[120:121]
	v_fma_f64 v[235:236], v[128:129], v[4:5], -v[235:236]
	v_fma_f64 v[4:5], v[130:131], v[4:5], v[237:238]
	v_fma_f64 v[132:133], v[132:133], v[0:1], -v[239:240]
	s_waitcnt vmcnt(20) lgkmcnt(16)
	v_mul_f64 v[237:238], v[162:163], v[74:75]
	v_mul_f64 v[74:75], v[160:161], v[74:75]
	s_waitcnt vmcnt(19) lgkmcnt(3)
	v_mul_f64 v[239:240], v[214:215], v[70:71]
	v_fma_f64 v[136:137], v[136:137], v[20:21], -v[241:242]
	v_fma_f64 v[20:21], v[138:139], v[20:21], v[22:23]
	v_mul_f64 v[22:23], v[212:213], v[70:71]
	s_waitcnt vmcnt(18)
	v_mul_f64 v[70:71], v[170:171], v[66:67]
	v_mul_f64 v[66:67], v[168:169], v[66:67]
	s_waitcnt vmcnt(17)
	v_mul_f64 v[138:139], v[146:147], v[62:63]
	v_fma_f64 v[152:153], v[152:153], v[16:17], -v[243:244]
	v_fma_f64 v[16:17], v[154:155], v[16:17], v[18:19]
	v_mul_f64 v[18:19], v[144:145], v[62:63]
	s_waitcnt vmcnt(16)
	v_mul_f64 v[62:63], v[182:183], v[54:55]
	v_mul_f64 v[54:55], v[180:181], v[54:55]
	s_waitcnt vmcnt(15)
	;; [unrolled: 8-line block ×3, first 2 shown]
	v_mul_f64 v[142:143], v[158:159], v[42:43]
	v_mul_f64 v[42:43], v[156:157], v[42:43]
	v_fma_f64 v[160:161], v[160:161], v[72:73], -v[237:238]
	v_fma_f64 v[72:73], v[162:163], v[72:73], v[74:75]
	s_waitcnt vmcnt(12)
	v_mul_f64 v[74:75], v[206:207], v[30:31]
	v_mul_f64 v[30:31], v[204:205], v[30:31]
	s_waitcnt vmcnt(11)
	v_mul_f64 v[162:163], v[166:167], v[38:39]
	v_fma_f64 v[212:213], v[212:213], v[68:69], -v[239:240]
	v_fma_f64 v[22:23], v[214:215], v[68:69], v[22:23]
	v_mul_f64 v[38:39], v[164:165], v[38:39]
	s_waitcnt vmcnt(10) lgkmcnt(1)
	v_mul_f64 v[68:69], v[228:229], v[26:27]
	v_mul_f64 v[26:27], v[226:227], v[26:27]
	s_waitcnt vmcnt(9)
	v_mul_f64 v[214:215], v[174:175], v[34:35]
	v_fma_f64 v[70:71], v[168:169], v[64:65], -v[70:71]
	v_fma_f64 v[64:65], v[170:171], v[64:65], v[66:67]
	v_mul_f64 v[34:35], v[172:173], v[34:35]
	s_waitcnt vmcnt(8)
	v_mul_f64 v[66:67], v[178:179], v[58:59]
	v_mul_f64 v[58:59], v[176:177], v[58:59]
	s_waitcnt vmcnt(7)
	v_mul_f64 v[168:169], v[186:187], v[78:79]
	v_fma_f64 v[138:139], v[144:145], v[60:61], -v[138:139]
	v_fma_f64 v[18:19], v[146:147], v[60:61], v[18:19]
	v_mul_f64 v[60:61], v[184:185], v[78:79]
	s_waitcnt vmcnt(6)
	;; [unrolled: 8-line block ×3, first 2 shown]
	v_mul_f64 v[146:147], v[210:211], v[94:95]
	v_fma_f64 v[148:149], v[148:149], v[48:49], -v[154:155]
	v_fma_f64 v[14:15], v[150:151], v[48:49], v[14:15]
	v_mul_f64 v[48:49], v[208:209], v[94:95]
	s_waitcnt vmcnt(1) lgkmcnt(0)
	v_mul_f64 v[150:151], v[233:234], v[102:103]
	v_fma_f64 v[50:51], v[192:193], v[44:45], -v[50:51]
	v_fma_f64 v[44:45], v[194:195], v[44:45], v[46:47]
	v_mul_f64 v[46:47], v[231:232], v[102:103]
	v_fma_f64 v[10:11], v[126:127], v[8:9], v[10:11]
	ds_read_b128 v[6:9], v230
	ds_read_b128 v[124:127], v230 offset:50112
	v_fma_f64 v[134:135], v[134:135], v[0:1], v[2:3]
	v_mul_f64 v[86:87], v[202:203], v[90:91]
	v_mul_f64 v[90:91], v[200:201], v[90:91]
	;; [unrolled: 1-line block ×4, first 2 shown]
	v_fma_f64 v[142:143], v[156:157], v[40:41], -v[142:143]
	v_fma_f64 v[40:41], v[158:159], v[40:41], v[42:43]
	v_fma_f64 v[42:43], v[204:205], v[28:29], -v[74:75]
	v_fma_f64 v[28:29], v[206:207], v[28:29], v[30:31]
	;; [unrolled: 2-line block ×7, first 2 shown]
	s_waitcnt vmcnt(0) lgkmcnt(0)
	v_mul_f64 v[102:103], v[126:127], v[106:107]
	v_mul_f64 v[106:107], v[124:125], v[106:107]
	v_fma_f64 v[66:67], v[188:189], v[80:81], -v[78:79]
	v_fma_f64 v[68:69], v[190:191], v[80:81], v[82:83]
	v_fma_f64 v[74:75], v[196:197], v[84:85], -v[144:145]
	v_fma_f64 v[54:55], v[198:199], v[84:85], v[54:55]
	;; [unrolled: 2-line block ×4, first 2 shown]
	ds_read_b128 v[0:3], v230 offset:1728
	ds_read_b128 v[128:131], v230 offset:3456
	v_fma_f64 v[76:77], v[200:201], v[88:89], -v[86:87]
	v_fma_f64 v[78:79], v[202:203], v[88:89], v[90:91]
	v_fma_f64 v[82:83], v[216:217], v[96:97], -v[94:95]
	v_fma_f64 v[86:87], v[218:219], v[96:97], v[98:99]
	v_add_f64 v[92:93], v[6:7], v[235:236]
	v_add_f64 v[96:97], v[120:121], v[132:133]
	;; [unrolled: 1-line block ×7, first 2 shown]
	v_fma_f64 v[88:89], v[124:125], v[104:105], -v[102:103]
	v_fma_f64 v[90:91], v[126:127], v[104:105], v[106:107]
	v_add_f64 v[102:103], v[235:236], v[212:213]
	v_add_f64 v[104:105], v[20:21], v[12:13]
	;; [unrolled: 1-line block ×5, first 2 shown]
	s_waitcnt lgkmcnt(1)
	v_add_f64 v[154:155], v[2:3], v[52:53]
	v_add_f64 v[162:163], v[74:75], v[80:81]
	;; [unrolled: 1-line block ×8, first 2 shown]
	s_waitcnt lgkmcnt(0)
	v_add_f64 v[170:171], v[128:129], v[58:59]
	v_add_f64 v[172:173], v[130:131], v[60:61]
	v_add_f64 v[178:179], v[235:236], -v[136:137]
	v_add_f64 v[182:183], v[136:137], -v[235:236]
	;; [unrolled: 1-line block ×10, first 2 shown]
	v_add_f64 v[202:203], v[152:153], v[160:161]
	v_add_f64 v[204:205], v[152:153], -v[160:161]
	v_add_f64 v[206:207], v[152:153], -v[132:133]
	;; [unrolled: 1-line block ×5, first 2 shown]
	v_add_f64 v[218:219], v[16:17], v[72:73]
	v_add_f64 v[226:227], v[16:17], -v[72:73]
	v_add_f64 v[228:229], v[16:17], -v[134:135]
	;; [unrolled: 1-line block ×3, first 2 shown]
	v_add_f64 v[134:135], v[134:135], v[64:65]
	v_add_f64 v[233:234], v[64:65], -v[72:73]
	v_add_f64 v[237:238], v[62:63], -v[50:51]
	;; [unrolled: 1-line block ×10, first 2 shown]
	v_fma_f64 v[100:101], v[100:101], -0.5, v[6:7]
	v_fma_f64 v[6:7], v[102:103], -0.5, v[6:7]
	v_fma_f64 v[102:103], v[104:105], -0.5, v[8:9]
	v_fma_f64 v[8:9], v[106:107], -0.5, v[8:9]
	v_add_f64 v[104:105], v[28:29], -v[24:25]
	v_add_f64 v[106:107], v[148:149], -v[142:143]
	v_fma_f64 v[124:125], v[124:125], -0.5, v[0:1]
	v_fma_f64 v[0:1], v[126:127], -0.5, v[0:1]
	;; [unrolled: 1-line block ×4, first 2 shown]
	v_add_f64 v[144:145], v[142:143], v[30:31]
	v_add_f64 v[146:147], v[142:143], -v[30:31]
	v_fma_f64 v[162:163], v[162:163], -0.5, v[128:129]
	v_fma_f64 v[128:129], v[164:165], -0.5, v[128:129]
	;; [unrolled: 1-line block ×4, first 2 shown]
	v_add_f64 v[166:167], v[142:143], -v[148:149]
	v_add_f64 v[168:169], v[148:149], -v[26:27]
	v_add_f64 v[148:149], v[148:149], v[26:27]
	v_add_f64 v[92:93], v[92:93], v[136:137]
	v_add_f64 v[136:137], v[26:27], -v[30:31]
	v_add_f64 v[96:97], v[96:97], v[152:153]
	v_add_f64 v[152:153], v[14:15], -v[40:41]
	v_add_f64 v[16:17], v[98:99], v[16:17]
	v_add_f64 v[98:99], v[40:41], v[36:37]
	;; [unrolled: 1-line block ×3, first 2 shown]
	v_add_f64 v[154:155], v[40:41], -v[14:15]
	v_add_f64 v[142:143], v[156:157], v[142:143]
	v_add_f64 v[156:157], v[14:15], -v[32:33]
	v_add_f64 v[14:15], v[14:15], v[32:33]
	v_add_f64 v[174:175], v[34:35], v[66:67]
	v_add_f64 v[176:177], v[56:57], v[68:69]
	v_add_f64 v[194:195], v[20:21], -v[12:13]
	v_add_f64 v[253:254], v[24:25], -v[28:29]
	v_add_f64 v[20:21], v[94:95], v[20:21]
	v_add_f64 v[94:95], v[30:31], -v[26:27]
	v_add_f64 v[208:209], v[132:133], -v[70:71]
	v_add_f64 v[132:133], v[132:133], v[70:71]
	v_add_f64 v[188:189], v[140:141], -v[212:213]
	v_add_f64 v[180:181], v[235:236], -v[212:213]
	;; [unrolled: 1-line block ×3, first 2 shown]
	v_add_f64 v[178:179], v[178:179], v[186:187]
	v_add_f64 v[186:187], v[36:37], -v[32:33]
	v_add_f64 v[190:191], v[190:191], v[196:197]
	v_add_f64 v[196:197], v[58:59], -v[74:75]
	;; [unrolled: 2-line block ×3, first 2 shown]
	v_add_f64 v[58:59], v[74:75], -v[58:59]
	v_add_f64 v[216:217], v[216:217], v[233:234]
	v_add_f64 v[233:234], v[84:85], -v[80:81]
	v_fma_f64 v[218:219], v[218:219], -0.5, v[10:11]
	v_fma_f64 v[10:11], v[134:135], -0.5, v[10:11]
	v_add_f64 v[134:135], v[80:81], -v[84:85]
	v_add_f64 v[198:199], v[4:5], v[198:199]
	v_add_f64 v[4:5], v[54:55], -v[60:61]
	v_add_f64 v[206:207], v[206:207], v[214:215]
	;; [unrolled: 2-line block ×3, first 2 shown]
	v_add_f64 v[243:244], v[76:77], v[82:83]
	v_add_f64 v[106:107], v[106:107], v[136:137]
	;; [unrolled: 1-line block ×3, first 2 shown]
	v_fma_f64 v[98:99], v[98:99], -0.5, v[18:19]
	v_fma_f64 v[14:15], v[14:15], -0.5, v[18:19]
	v_add_f64 v[18:19], v[68:69], -v[78:79]
	v_add_f64 v[62:63], v[62:63], v[245:246]
	v_add_f64 v[245:246], v[78:79], v[86:87]
	;; [unrolled: 1-line block ×3, first 2 shown]
	v_add_f64 v[104:105], v[90:91], -v[86:87]
	v_fma_f64 v[144:145], v[144:145], -0.5, v[138:139]
	v_fma_f64 v[138:139], v[148:149], -0.5, v[138:139]
	v_add_f64 v[148:149], v[68:69], v[90:91]
	v_add_f64 v[241:242], v[50:51], -v[42:43]
	v_add_f64 v[50:51], v[150:151], v[50:51]
	v_add_f64 v[150:151], v[40:41], -v[36:37]
	;; [unrolled: 2-line block ×3, first 2 shown]
	v_fma_f64 v[202:203], v[202:203], -0.5, v[120:121]
	v_add_f64 v[247:248], v[247:248], v[253:254]
	v_add_f64 v[253:254], v[76:77], -v[66:67]
	v_add_f64 v[94:95], v[166:167], v[94:95]
	v_add_f64 v[166:167], v[82:83], -v[88:89]
	v_add_f64 v[170:171], v[170:171], v[74:75]
	v_add_f64 v[172:173], v[172:173], v[54:55]
	;; [unrolled: 1-line block ×4, first 2 shown]
	v_fma_f64 v[120:121], v[132:133], -0.5, v[120:121]
	v_add_f64 v[182:183], v[182:183], v[188:189]
	v_add_f64 v[188:189], v[60:61], -v[54:55]
	v_add_f64 v[132:133], v[46:47], -v[48:49]
	v_add_f64 v[228:229], v[228:229], v[235:236]
	v_add_f64 v[235:236], v[66:67], -v[76:77]
	v_add_f64 v[154:155], v[154:155], v[186:187]
	;; [unrolled: 2-line block ×3, first 2 shown]
	v_add_f64 v[233:234], v[86:87], -v[90:91]
	v_add_f64 v[54:55], v[54:55], -v[48:49]
	;; [unrolled: 1-line block ×6, first 2 shown]
	v_add_f64 v[104:105], v[18:19], v[104:105]
	v_fma_f64 v[18:19], v[245:246], -0.5, v[56:57]
	v_fma_f64 v[56:57], v[148:149], -0.5, v[56:57]
	v_add_f64 v[58:59], v[58:59], v[134:135]
	v_add_f64 v[134:135], v[4:5], v[214:215]
	v_fma_f64 v[4:5], v[243:244], -0.5, v[34:35]
	v_fma_f64 v[34:35], v[136:137], -0.5, v[34:35]
	v_add_f64 v[92:93], v[92:93], v[140:141]
	v_add_f64 v[12:13], v[20:21], v[12:13]
	;; [unrolled: 1-line block ×4, first 2 shown]
	v_add_f64 v[158:159], v[88:89], -v[82:83]
	v_add_f64 v[74:75], v[74:75], -v[80:81]
	;; [unrolled: 1-line block ×3, first 2 shown]
	v_add_f64 v[136:137], v[253:254], v[166:167]
	v_add_f64 v[16:17], v[16:17], v[72:73]
	v_add_f64 v[42:43], v[50:51], v[42:43]
	v_add_f64 v[28:29], v[44:45], v[28:29]
	v_add_f64 v[30:31], v[142:143], v[30:31]
	v_add_f64 v[36:37], v[40:41], v[36:37]
	v_add_f64 v[40:41], v[170:171], v[80:81]
	v_add_f64 v[44:45], v[172:173], v[48:49]
	v_add_f64 v[48:49], v[174:175], v[82:83]
	v_add_f64 v[50:51], v[176:177], v[86:87]
	v_fma_f64 v[72:73], v[194:195], s[12:13], v[6:7]
	v_fma_f64 v[80:81], v[192:193], s[10:11], v[100:101]
	;; [unrolled: 1-line block ×15, first 2 shown]
	v_add_f64 v[132:133], v[188:189], v[132:133]
	v_fma_f64 v[8:9], v[184:185], s[12:13], v[8:9]
	v_fma_f64 v[172:173], v[251:252], s[12:13], v[0:1]
	;; [unrolled: 1-line block ×15, first 2 shown]
	v_add_f64 v[148:149], v[186:187], v[233:234]
	v_fma_f64 v[233:234], v[54:55], s[12:13], v[128:129]
	v_fma_f64 v[128:129], v[54:55], s[10:11], v[128:129]
	;; [unrolled: 1-line block ×4, first 2 shown]
	v_add_f64 v[92:93], v[92:93], v[212:213]
	v_fma_f64 v[212:213], v[68:69], s[10:11], v[4:5]
	v_add_f64 v[12:13], v[12:13], v[22:23]
	v_fma_f64 v[22:23], v[76:77], s[10:11], v[56:57]
	v_fma_f64 v[56:57], v[76:77], s[12:13], v[56:57]
	v_add_f64 v[20:21], v[20:21], v[70:71]
	v_fma_f64 v[70:71], v[66:67], s[12:13], v[18:19]
	v_fma_f64 v[186:187], v[239:240], s[12:13], v[126:127]
	;; [unrolled: 1-line block ×3, first 2 shown]
	v_add_f64 v[158:159], v[235:236], v[158:159]
	v_fma_f64 v[235:236], v[60:61], s[10:11], v[162:163]
	v_fma_f64 v[162:163], v[60:61], s[12:13], v[162:163]
	;; [unrolled: 1-line block ×4, first 2 shown]
	v_add_f64 v[16:17], v[16:17], v[64:65]
	v_add_f64 v[38:39], v[42:43], v[38:39]
	;; [unrolled: 1-line block ×8, first 2 shown]
	v_fma_f64 v[42:43], v[192:193], s[14:15], v[72:73]
	v_fma_f64 v[46:47], v[180:181], s[16:17], v[86:87]
	;; [unrolled: 1-line block ×12, first 2 shown]
	v_add_f64 v[36:37], v[48:49], v[88:89]
	v_fma_f64 v[44:45], v[192:193], s[16:17], v[6:7]
	v_fma_f64 v[88:89], v[226:227], s[16:17], v[142:143]
	;; [unrolled: 1-line block ×33, first 2 shown]
	v_add_f64 v[0:1], v[92:93], v[20:21]
	v_add_f64 v[2:3], v[12:13], v[16:17]
	;; [unrolled: 1-line block ×3, first 2 shown]
	v_add_f64 v[14:15], v[24:25], -v[28:29]
	v_add_f64 v[18:19], v[32:33], v[40:41]
	v_add_f64 v[22:23], v[32:33], -v[40:41]
	v_fma_f64 v[28:29], v[182:183], s[18:19], v[42:43]
	v_fma_f64 v[32:33], v[228:229], s[18:19], v[72:73]
	;; [unrolled: 1-line block ×4, first 2 shown]
	v_add_f64 v[4:5], v[92:93], -v[20:21]
	v_add_f64 v[6:7], v[12:13], -v[16:17]
	v_fma_f64 v[24:25], v[206:207], s[18:19], v[50:51]
	v_fma_f64 v[243:244], v[74:75], s[10:11], v[130:131]
	;; [unrolled: 1-line block ×5, first 2 shown]
	v_add_f64 v[8:9], v[38:39], v[26:27]
	v_add_f64 v[12:13], v[38:39], -v[26:27]
	v_fma_f64 v[26:27], v[206:207], s[18:19], v[64:65]
	v_fma_f64 v[40:41], v[228:229], s[18:19], v[84:85]
	v_add_f64 v[16:17], v[30:31], v[36:37]
	v_add_f64 v[20:21], v[30:31], -v[36:37]
	v_fma_f64 v[36:37], v[182:183], s[18:19], v[44:45]
	v_fma_f64 v[30:31], v[198:199], s[18:19], v[46:47]
	;; [unrolled: 1-line block ×30, first 2 shown]
	s_barrier
	buffer_gl0_inv
	v_fma_f64 v[172:173], v[241:242], s[16:17], v[186:187]
	v_fma_f64 v[138:139], v[58:59], s[18:19], v[146:147]
	;; [unrolled: 1-line block ×5, first 2 shown]
	ds_write_b128 v119, v[0:3]
	ds_write_b128 v119, v[4:7] offset:720
	v_mul_f64 v[0:1], v[72:73], s[14:15]
	v_mul_f64 v[2:3], v[42:43], s[16:17]
	;; [unrolled: 1-line block ×4, first 2 shown]
	v_fma_f64 v[136:137], v[132:133], s[18:19], v[162:163]
	v_fma_f64 v[132:133], v[132:133], s[18:19], v[74:75]
	v_mul_f64 v[70:71], v[26:27], s[18:19]
	v_mul_f64 v[74:75], v[40:41], s[18:19]
	;; [unrolled: 1-line block ×8, first 2 shown]
	v_fma_f64 v[100:101], v[237:238], s[18:19], v[150:151]
	v_mul_f64 v[150:151], v[88:89], s[18:19]
	v_mul_f64 v[152:153], v[92:93], s[18:19]
	;; [unrolled: 1-line block ×4, first 2 shown]
	v_fma_f64 v[128:129], v[210:211], s[16:17], v[243:244]
	v_fma_f64 v[130:131], v[210:211], s[14:15], v[130:131]
	v_mul_f64 v[158:159], v[60:61], s[14:15]
	v_mul_f64 v[160:161], v[66:67], s[16:17]
	;; [unrolled: 1-line block ×6, first 2 shown]
	v_fma_f64 v[106:107], v[247:248], s[18:19], v[172:173]
	v_mul_f64 v[170:171], v[58:59], s[20:21]
	v_mul_f64 v[172:173], v[54:55], s[20:21]
	v_fma_f64 v[42:43], v[42:43], s[20:21], v[0:1]
	v_fma_f64 v[72:73], v[72:73], s[20:21], v[2:3]
	;; [unrolled: 1-line block ×4, first 2 shown]
	v_fma_f64 v[40:41], v[40:41], s[10:11], -v[70:71]
	v_fma_f64 v[70:71], v[26:27], s[12:13], -v[74:75]
	;; [unrolled: 1-line block ×4, first 2 shown]
	v_fma_f64 v[78:79], v[94:95], s[20:21], v[104:105]
	v_fma_f64 v[80:81], v[124:125], s[20:21], v[144:145]
	;; [unrolled: 1-line block ×4, first 2 shown]
	v_fma_f64 v[92:93], v[92:93], s[10:11], -v[150:151]
	v_fma_f64 v[88:89], v[88:89], s[12:13], -v[152:153]
	v_fma_f64 v[98:99], v[98:99], s[14:15], -v[154:155]
	v_fma_f64 v[96:97], v[96:97], s[16:17], -v[156:157]
	v_fma_f64 v[128:129], v[134:135], s[18:19], v[128:129]
	v_fma_f64 v[130:131], v[134:135], s[18:19], v[130:131]
	;; [unrolled: 1-line block ×7, first 2 shown]
	v_fma_f64 v[146:147], v[56:57], s[10:11], -v[166:167]
	v_fma_f64 v[148:149], v[34:35], s[12:13], -v[168:169]
	;; [unrolled: 1-line block ×4, first 2 shown]
	v_add_f64 v[0:1], v[46:47], v[42:43]
	v_add_f64 v[2:3], v[50:51], v[72:73]
	;; [unrolled: 1-line block ×4, first 2 shown]
	v_add_f64 v[30:31], v[30:31], -v[32:33]
	v_add_f64 v[32:33], v[36:37], v[40:41]
	v_add_f64 v[34:35], v[38:39], v[70:71]
	v_add_f64 v[4:5], v[46:47], -v[42:43]
	v_add_f64 v[36:37], v[36:37], -v[40:41]
	v_add_f64 v[40:41], v[48:49], v[74:75]
	v_add_f64 v[42:43], v[64:65], v[76:77]
	v_add_f64 v[6:7], v[50:51], -v[72:73]
	v_add_f64 v[28:29], v[28:29], -v[174:175]
	;; [unrolled: 1-line block ×5, first 2 shown]
	v_add_f64 v[48:49], v[100:101], v[78:79]
	v_add_f64 v[50:51], v[106:107], v[80:81]
	;; [unrolled: 1-line block ×8, first 2 shown]
	v_add_f64 v[52:53], v[100:101], -v[78:79]
	v_add_f64 v[54:55], v[106:107], -v[80:81]
	;; [unrolled: 1-line block ×8, first 2 shown]
	v_add_f64 v[80:81], v[134:135], v[104:105]
	v_add_f64 v[82:83], v[136:137], v[124:125]
	;; [unrolled: 1-line block ×6, first 2 shown]
	v_add_f64 v[84:85], v[134:135], -v[104:105]
	v_add_f64 v[86:87], v[136:137], -v[124:125]
	;; [unrolled: 1-line block ×6, first 2 shown]
	v_add_f64 v[104:105], v[142:143], v[150:151]
	v_add_f64 v[106:107], v[132:133], v[152:153]
	v_add_f64 v[124:125], v[142:143], -v[150:151]
	v_add_f64 v[126:127], v[132:133], -v[152:153]
	ds_write_b128 v119, v[0:3] offset:144
	ds_write_b128 v119, v[24:27] offset:288
	ds_write_b128 v119, v[32:35] offset:432
	ds_write_b128 v119, v[40:43] offset:576
	ds_write_b128 v119, v[4:7] offset:864
	ds_write_b128 v119, v[28:31] offset:1008
	ds_write_b128 v119, v[36:39] offset:1152
	ds_write_b128 v119, v[44:47] offset:1296
	ds_write_b128 v118, v[8:11]
	ds_write_b128 v118, v[48:51] offset:144
	ds_write_b128 v118, v[56:59] offset:288
	;; [unrolled: 1-line block ×9, first 2 shown]
	ds_write_b128 v116, v[16:19]
	ds_write_b128 v116, v[80:83] offset:144
	ds_write_b128 v116, v[88:91] offset:288
	;; [unrolled: 1-line block ×9, first 2 shown]
	v_mov_b32_e32 v32, 0x2d83
	v_lshrrev_b16 v102, 14, v123
	s_waitcnt lgkmcnt(0)
	s_barrier
	buffer_gl0_inv
	v_mul_u32_u24_sdwa v5, v113, v32 dst_sel:DWORD dst_unused:UNUSED_PAD src0_sel:WORD_0 src1_sel:DWORD
	s_clause 0x3
	global_load_dwordx4 v[0:3], v[108:109], off offset:1392
	global_load_dwordx4 v[16:19], v[108:109], off offset:1408
	;; [unrolled: 1-line block ×4, first 2 shown]
	v_lshrrev_b32_e32 v100, 20, v5
	v_mul_lo_u16 v4, 0x5a, v102
	v_mul_u32_u24_sdwa v21, v112, v32 dst_sel:DWORD dst_unused:UNUSED_PAD src0_sel:WORD_0 src1_sel:DWORD
	v_mul_u32_u24_sdwa v32, v114, v32 dst_sel:DWORD dst_unused:UNUSED_PAD src0_sel:WORD_0 src1_sel:DWORD
	v_mul_lo_u16 v20, 0x5a, v100
	v_sub_nc_u16 v103, v111, v4
	v_lshrrev_b32_e32 v101, 20, v21
	v_lshrrev_b32_e32 v107, 20, v32
	v_cndmask_b32_e64 v111, 0, 0x21c0, s0
	v_sub_nc_u16 v104, v113, v20
	v_mul_u32_u24_sdwa v4, v103, v110 dst_sel:DWORD dst_unused:UNUSED_PAD src0_sel:BYTE_0 src1_sel:DWORD
	v_mul_lo_u16 v35, 0x5a, v101
	v_lshlrev_b32_e32 v113, 4, v117
	v_mul_u32_u24_sdwa v34, v104, v110 dst_sel:DWORD dst_unused:UNUSED_PAD src0_sel:WORD_0 src1_sel:DWORD
	v_lshlrev_b32_e32 v33, 4, v4
	global_load_dwordx4 v[4:7], v[108:109], off offset:1456
	v_sub_nc_u16 v105, v112, v35
	v_mov_b32_e32 v112, 0x21c0
	v_lshlrev_b32_e32 v34, 4, v34
	s_clause 0x5
	global_load_dwordx4 v[28:31], v33, s[8:9] offset:1392
	global_load_dwordx4 v[24:27], v33, s[8:9] offset:1408
	;; [unrolled: 1-line block ×6, first 2 shown]
	v_mul_lo_u16 v33, 0x5a, v107
	v_mul_u32_u24_sdwa v32, v105, v110 dst_sel:DWORD dst_unused:UNUSED_PAD src0_sel:WORD_0 src1_sel:DWORD
	s_clause 0x3
	global_load_dwordx4 v[40:43], v34, s[8:9] offset:1408
	global_load_dwordx4 v[36:39], v34, s[8:9] offset:1424
	;; [unrolled: 1-line block ×4, first 2 shown]
	v_sub_nc_u16 v106, v114, v33
	v_lshlrev_b32_e32 v48, 4, v32
	s_clause 0x1
	global_load_dwordx4 v[64:67], v48, s[8:9] offset:1392
	global_load_dwordx4 v[44:47], v48, s[8:9] offset:1408
	v_mul_u32_u24_sdwa v49, v106, v110 dst_sel:DWORD dst_unused:UNUSED_PAD src0_sel:WORD_0 src1_sel:DWORD
	s_clause 0x1
	global_load_dwordx4 v[32:35], v48, s[8:9] offset:1424
	global_load_dwordx4 v[60:63], v48, s[8:9] offset:1440
	v_add3_u32 v219, 0, v111, v113
	v_mul_u32_u24_e32 v111, 0x21c0, v100
	v_mul_u32_u24_e32 v113, 0x21c0, v101
	v_lshlrev_b32_e32 v96, 4, v49
	s_clause 0x5
	global_load_dwordx4 v[48:51], v48, s[8:9] offset:1456
	global_load_dwordx4 v[80:83], v96, s[8:9] offset:1392
	;; [unrolled: 1-line block ×6, first 2 shown]
	v_mul_u32_u24_e32 v114, 0x21c0, v107
	v_mul_u32_u24_sdwa v112, v102, v112 dst_sel:DWORD dst_unused:UNUSED_PAD src0_sel:WORD_0 src1_sel:DWORD
	v_lshlrev_b32_sdwa v116, v115, v104 dst_sel:DWORD dst_unused:UNUSED_PAD src0_sel:DWORD src1_sel:WORD_0
	v_lshlrev_b32_sdwa v117, v115, v105 dst_sel:DWORD dst_unused:UNUSED_PAD src0_sel:DWORD src1_sel:WORD_0
	;; [unrolled: 1-line block ×3, first 2 shown]
	v_lshlrev_b32_sdwa v115, v115, v103 dst_sel:DWORD dst_unused:UNUSED_PAD src0_sel:DWORD src1_sel:BYTE_0
	ds_read_b128 v[104:107], v230 offset:8640
	v_add3_u32 v221, 0, v111, v116
	v_add3_u32 v224, 0, v113, v117
	;; [unrolled: 1-line block ×4, first 2 shown]
	ds_read_b128 v[111:114], v230 offset:17280
	ds_read_b128 v[115:118], v230 offset:34560
	;; [unrolled: 1-line block ×24, first 2 shown]
	ds_read_b128 v[207:210], v230
	ds_read_b128 v[211:214], v230 offset:1728
	ds_read_b128 v[215:218], v230 offset:3456
	v_mul_u32_u24_e32 v108, 5, v220
	v_lshlrev_b32_e32 v108, 4, v108
	v_add_co_u32 v109, s0, s8, v108
	v_add_co_ci_u32_e64 v110, null, s9, 0, s0
	v_add_co_u32 v100, s0, 0x2000, v109
	v_add_co_ci_u32_e64 v101, s0, 0, v110, s0
	v_add_co_u32 v102, s0, 0x2190, v109
	v_add_co_ci_u32_e64 v103, s0, 0, v110, s0
	s_waitcnt vmcnt(24) lgkmcnt(27)
	v_mul_f64 v[226:227], v[106:107], v[2:3]
	s_waitcnt vmcnt(23) lgkmcnt(26)
	v_mul_f64 v[228:229], v[113:114], v[18:19]
	v_mul_f64 v[18:19], v[111:112], v[18:19]
	s_waitcnt vmcnt(22) lgkmcnt(23)
	v_mul_f64 v[231:232], v[125:126], v[14:15]
	v_mul_f64 v[14:15], v[123:124], v[14:15]
	s_waitcnt vmcnt(21)
	v_mul_f64 v[233:234], v[117:118], v[10:11]
	v_mul_f64 v[10:11], v[115:116], v[10:11]
	;; [unrolled: 1-line block ×3, first 2 shown]
	s_waitcnt vmcnt(20) lgkmcnt(21)
	v_mul_f64 v[237:238], v[133:134], v[6:7]
	v_mul_f64 v[6:7], v[131:132], v[6:7]
	v_fma_f64 v[111:112], v[111:112], v[16:17], -v[228:229]
	v_fma_f64 v[16:17], v[113:114], v[16:17], v[18:19]
	s_waitcnt vmcnt(19)
	v_mul_f64 v[239:240], v[121:122], v[30:31]
	v_mul_f64 v[18:19], v[119:120], v[30:31]
	s_waitcnt vmcnt(18) lgkmcnt(19)
	v_mul_f64 v[30:31], v[141:142], v[26:27]
	v_mul_f64 v[26:27], v[139:140], v[26:27]
	s_waitcnt vmcnt(17)
	v_mul_f64 v[113:114], v[129:130], v[22:23]
	v_fma_f64 v[123:124], v[123:124], v[12:13], -v[231:232]
	v_fma_f64 v[12:13], v[125:126], v[12:13], v[14:15]
	v_mul_f64 v[14:15], v[127:128], v[22:23]
	s_waitcnt vmcnt(15)
	v_mul_f64 v[125:126], v[137:138], v[74:75]
	s_waitcnt lgkmcnt(17)
	v_mul_f64 v[22:23], v[149:150], v[78:79]
	v_mul_f64 v[78:79], v[147:148], v[78:79]
	v_fma_f64 v[115:116], v[115:116], v[8:9], -v[233:234]
	v_fma_f64 v[8:9], v[117:118], v[8:9], v[10:11]
	v_mul_f64 v[10:11], v[135:136], v[74:75]
	s_waitcnt vmcnt(14) lgkmcnt(15)
	v_mul_f64 v[74:75], v[157:158], v[70:71]
	v_mul_f64 v[70:71], v[155:156], v[70:71]
	s_waitcnt vmcnt(13)
	v_mul_f64 v[117:118], v[145:146], v[42:43]
	v_fma_f64 v[226:227], v[104:105], v[0:1], -v[226:227]
	v_fma_f64 v[131:132], v[131:132], v[4:5], -v[237:238]
	v_fma_f64 v[4:5], v[133:134], v[4:5], v[6:7]
	v_mul_f64 v[6:7], v[143:144], v[42:43]
	s_waitcnt vmcnt(12) lgkmcnt(13)
	v_mul_f64 v[42:43], v[165:166], v[38:39]
	v_mul_f64 v[38:39], v[163:164], v[38:39]
	s_waitcnt vmcnt(11)
	v_mul_f64 v[133:134], v[153:154], v[54:55]
	v_fma_f64 v[119:120], v[119:120], v[28:29], -v[239:240]
	v_fma_f64 v[18:19], v[121:122], v[28:29], v[18:19]
	v_mul_f64 v[28:29], v[151:152], v[54:55]
	s_waitcnt vmcnt(10) lgkmcnt(11)
	v_mul_f64 v[54:55], v[173:174], v[58:59]
	v_mul_f64 v[58:59], v[171:172], v[58:59]
	s_waitcnt vmcnt(9)
	v_mul_f64 v[121:122], v[161:162], v[66:67]
	;; [unrolled: 8-line block ×4, first 2 shown]
	v_fma_f64 v[125:126], v[135:136], v[72:73], -v[125:126]
	s_waitcnt vmcnt(1) lgkmcnt(4)
	v_mul_f64 v[135:136], v[201:202], v[94:95]
	v_mul_f64 v[127:128], v[177:178], v[50:51]
	;; [unrolled: 1-line block ×3, first 2 shown]
	v_fma_f64 v[22:23], v[147:148], v[76:77], -v[22:23]
	v_fma_f64 v[76:77], v[149:150], v[76:77], v[78:79]
	v_mul_f64 v[78:79], v[181:182], v[82:83]
	v_mul_f64 v[82:83], v[179:180], v[82:83]
	v_fma_f64 v[10:11], v[137:138], v[72:73], v[10:11]
	v_mul_f64 v[72:73], v[187:188], v[86:87]
	v_mul_f64 v[86:87], v[193:194], v[90:91]
	;; [unrolled: 1-line block ×3, first 2 shown]
	v_fma_f64 v[74:75], v[155:156], v[68:69], -v[74:75]
	v_fma_f64 v[68:69], v[157:158], v[68:69], v[70:71]
	v_mul_f64 v[70:71], v[199:200], v[94:95]
	s_waitcnt vmcnt(0) lgkmcnt(3)
	v_mul_f64 v[94:95], v[205:206], v[98:99]
	v_mul_f64 v[98:99], v[203:204], v[98:99]
	v_fma_f64 v[117:118], v[143:144], v[40:41], -v[117:118]
	v_fma_f64 v[6:7], v[145:146], v[40:41], v[6:7]
	v_fma_f64 v[40:41], v[163:164], v[36:37], -v[42:43]
	v_fma_f64 v[36:37], v[165:166], v[36:37], v[38:39]
	;; [unrolled: 2-line block ×5, first 2 shown]
	v_fma_f64 v[46:47], v[197:198], v[60:61], v[62:63]
	v_fma_f64 v[62:63], v[187:188], v[84:85], -v[129:130]
	v_fma_f64 v[66:67], v[199:200], v[92:93], -v[135:136]
	v_fma_f64 v[235:236], v[106:107], v[0:1], v[2:3]
	v_fma_f64 v[26:27], v[161:162], v[64:65], v[26:27]
	v_fma_f64 v[58:59], v[167:168], v[32:33], -v[139:140]
	v_fma_f64 v[20:21], v[169:170], v[32:33], v[20:21]
	v_fma_f64 v[32:33], v[175:176], v[48:49], -v[127:128]
	;; [unrolled: 2-line block ×3, first 2 shown]
	ds_read_b128 v[0:3], v230 offset:5184
	ds_read_b128 v[104:107], v230 offset:6912
	v_fma_f64 v[54:55], v[159:160], v[64:65], -v[121:122]
	v_fma_f64 v[50:51], v[179:180], v[80:81], -v[78:79]
	v_fma_f64 v[60:61], v[181:182], v[80:81], v[82:83]
	v_fma_f64 v[64:65], v[189:190], v[84:85], v[72:73]
	v_fma_f64 v[72:73], v[191:192], v[88:89], -v[86:87]
	v_fma_f64 v[78:79], v[193:194], v[88:89], v[90:91]
	v_fma_f64 v[80:81], v[203:204], v[96:97], -v[94:95]
	v_fma_f64 v[82:83], v[205:206], v[96:97], v[98:99]
	s_waitcnt lgkmcnt(4)
	v_add_f64 v[121:122], v[207:208], v[111:112]
	v_add_f64 v[151:152], v[226:227], v[123:124]
	;; [unrolled: 1-line block ×4, first 2 shown]
	v_fma_f64 v[70:71], v[201:202], v[92:93], v[70:71]
	v_add_f64 v[143:144], v[62:63], v[66:67]
	v_add_f64 v[86:87], v[16:17], v[8:9]
	s_waitcnt lgkmcnt(3)
	v_add_f64 v[129:130], v[211:212], v[30:31]
	v_add_f64 v[133:134], v[213:214], v[24:25]
	;; [unrolled: 1-line block ×8, first 2 shown]
	s_waitcnt lgkmcnt(2)
	v_add_f64 v[135:136], v[215:216], v[117:118]
	v_add_f64 v[137:138], v[217:218], v[6:7]
	;; [unrolled: 1-line block ×4, first 2 shown]
	v_add_f64 v[167:168], v[14:15], -v[10:11]
	v_add_f64 v[14:15], v[74:75], v[40:41]
	v_add_f64 v[169:170], v[68:69], v[36:37]
	;; [unrolled: 1-line block ×3, first 2 shown]
	v_add_f64 v[173:174], v[6:7], -v[28:29]
	v_add_f64 v[6:7], v[40:41], v[42:43]
	v_add_f64 v[90:91], v[24:25], v[76:77]
	s_waitcnt lgkmcnt(1)
	v_add_f64 v[141:142], v[2:3], v[44:45]
	v_add_f64 v[177:178], v[26:27], v[20:21]
	;; [unrolled: 1-line block ×8, first 2 shown]
	s_waitcnt lgkmcnt(0)
	v_add_f64 v[147:148], v[104:105], v[62:63]
	v_add_f64 v[111:112], v[111:112], -v[115:116]
	v_add_f64 v[123:124], v[123:124], -v[131:132]
	;; [unrolled: 1-line block ×3, first 2 shown]
	v_add_f64 v[175:176], v[54:55], v[58:59]
	v_add_f64 v[179:180], v[50:51], v[72:73]
	v_add_f64 v[187:188], v[20:21], -v[48:49]
	v_add_f64 v[20:21], v[78:79], v[82:83]
	v_add_f64 v[189:190], v[72:73], v[80:81]
	v_fma_f64 v[104:105], v[143:144], -0.5, v[104:105]
	v_add_f64 v[115:116], v[121:122], v[115:116]
	v_add_f64 v[121:122], v[151:152], v[131:132]
	v_fma_f64 v[131:132], v[157:158], -0.5, v[235:236]
	v_fma_f64 v[143:144], v[153:154], -0.5, v[226:227]
	v_add_f64 v[145:146], v[64:65], v[70:71]
	v_fma_f64 v[86:87], v[86:87], -0.5, v[209:210]
	v_add_f64 v[149:150], v[106:107], v[64:65]
	v_add_f64 v[30:31], v[30:31], -v[22:23]
	v_add_f64 v[24:25], v[24:25], -v[76:77]
	;; [unrolled: 1-line block ×3, first 2 shown]
	v_add_f64 v[181:182], v[60:61], v[78:79]
	v_add_f64 v[22:23], v[129:130], v[22:23]
	;; [unrolled: 1-line block ×4, first 2 shown]
	v_fma_f64 v[18:19], v[165:166], -0.5, v[18:19]
	v_fma_f64 v[119:120], v[161:162], -0.5, v[119:120]
	v_add_f64 v[92:93], v[117:118], v[38:39]
	v_add_f64 v[16:17], v[16:17], -v[8:9]
	v_add_f64 v[117:118], v[117:118], -v[38:39]
	;; [unrolled: 1-line block ×4, first 2 shown]
	v_fma_f64 v[84:85], v[84:85], -0.5, v[207:208]
	v_add_f64 v[8:9], v[127:128], v[8:9]
	v_add_f64 v[127:128], v[155:156], v[4:5]
	;; [unrolled: 1-line block ×7, first 2 shown]
	v_fma_f64 v[68:69], v[171:172], -0.5, v[68:69]
	v_fma_f64 v[74:75], v[6:7], -0.5, v[74:75]
	v_add_f64 v[58:59], v[58:59], -v[32:33]
	v_add_f64 v[44:45], v[44:45], -v[46:47]
	v_fma_f64 v[90:91], v[90:91], -0.5, v[213:214]
	v_add_f64 v[46:47], v[141:142], v[46:47]
	v_add_f64 v[48:49], v[177:178], v[48:49]
	v_fma_f64 v[133:134], v[185:186], -0.5, v[26:27]
	v_fma_f64 v[54:55], v[183:184], -0.5, v[54:55]
	;; [unrolled: 1-line block ×4, first 2 shown]
	v_add_f64 v[56:57], v[56:57], -v[34:35]
	v_add_f64 v[72:73], v[72:73], -v[80:81]
	;; [unrolled: 1-line block ×4, first 2 shown]
	v_fma_f64 v[88:89], v[88:89], -0.5, v[211:212]
	v_fma_f64 v[98:99], v[98:99], -0.5, v[2:3]
	v_add_f64 v[34:35], v[139:140], v[34:35]
	v_add_f64 v[32:33], v[175:176], v[32:33]
	;; [unrolled: 1-line block ×4, first 2 shown]
	v_fma_f64 v[60:61], v[20:21], -0.5, v[60:61]
	v_fma_f64 v[50:51], v[189:190], -0.5, v[50:51]
	v_add_f64 v[0:1], v[115:116], v[121:122]
	v_add_f64 v[4:5], v[115:116], -v[121:122]
	v_fma_f64 v[115:116], v[123:124], s[6:7], v[131:132]
	v_fma_f64 v[121:122], v[12:13], s[4:5], v[143:144]
	v_add_f64 v[64:65], v[64:65], -v[70:71]
	v_fma_f64 v[106:107], v[145:146], -0.5, v[106:107]
	v_fma_f64 v[135:136], v[111:112], s[6:7], v[86:87]
	v_fma_f64 v[137:138], v[12:13], s[6:7], v[143:144]
	;; [unrolled: 1-line block ×4, first 2 shown]
	v_add_f64 v[70:71], v[149:150], v[70:71]
	v_add_f64 v[82:83], v[181:182], v[82:83]
	;; [unrolled: 1-line block ×3, first 2 shown]
	v_add_f64 v[14:15], v[76:77], -v[129:130]
	v_fma_f64 v[76:77], v[113:114], s[6:7], v[18:19]
	v_fma_f64 v[123:124], v[167:168], s[4:5], v[119:120]
	;; [unrolled: 1-line block ×4, first 2 shown]
	v_add_f64 v[2:3], v[8:9], v[127:128]
	v_add_f64 v[6:7], v[8:9], -v[127:128]
	v_fma_f64 v[127:128], v[16:17], s[4:5], v[84:85]
	v_fma_f64 v[84:85], v[16:17], s[6:7], v[84:85]
	v_add_f64 v[8:9], v[22:23], v[125:126]
	v_add_f64 v[12:13], v[22:23], -v[125:126]
	v_add_f64 v[16:17], v[38:39], v[42:43]
	v_add_f64 v[18:19], v[28:29], v[52:53]
	v_add_f64 v[20:21], v[38:39], -v[42:43]
	v_add_f64 v[22:23], v[28:29], -v[52:53]
	v_fma_f64 v[42:43], v[40:41], s[6:7], v[68:69]
	v_fma_f64 v[52:53], v[36:37], s[4:5], v[74:75]
	;; [unrolled: 1-line block ×6, first 2 shown]
	v_add_f64 v[26:27], v[46:47], v[48:49]
	v_add_f64 v[30:31], v[46:47], -v[48:49]
	v_fma_f64 v[46:47], v[58:59], s[6:7], v[133:134]
	v_fma_f64 v[48:49], v[187:188], s[4:5], v[54:55]
	;; [unrolled: 1-line block ×10, first 2 shown]
	v_add_f64 v[24:25], v[34:35], v[32:33]
	v_add_f64 v[28:29], v[34:35], -v[32:33]
	v_add_f64 v[32:33], v[66:67], v[80:81]
	v_add_f64 v[36:37], v[66:67], -v[80:81]
	v_fma_f64 v[141:142], v[56:57], s[6:7], v[98:99]
	v_fma_f64 v[98:99], v[56:57], s[4:5], v[98:99]
	;; [unrolled: 1-line block ×6, first 2 shown]
	v_mul_f64 v[66:67], v[115:116], s[4:5]
	v_mul_f64 v[68:69], v[121:122], s[6:7]
	v_fma_f64 v[133:134], v[64:65], s[4:5], v[104:105]
	v_fma_f64 v[143:144], v[62:63], s[6:7], v[106:107]
	;; [unrolled: 1-line block ×4, first 2 shown]
	v_mul_f64 v[62:63], v[137:138], -0.5
	v_mul_f64 v[64:65], v[111:112], -0.5
	v_add_f64 v[34:35], v[70:71], v[82:83]
	v_add_f64 v[38:39], v[70:71], -v[82:83]
	v_mul_f64 v[70:71], v[76:77], s[4:5]
	v_mul_f64 v[72:73], v[123:124], s[6:7]
	v_mul_f64 v[78:79], v[119:120], -0.5
	v_mul_f64 v[80:81], v[113:114], -0.5
	v_fma_f64 v[92:93], v[92:93], -0.5, v[215:216]
	v_mul_f64 v[82:83], v[42:43], s[4:5]
	v_mul_f64 v[104:105], v[52:53], s[6:7]
	v_mul_f64 v[106:107], v[74:75], -0.5
	v_mul_f64 v[149:150], v[40:41], -0.5
	v_mul_f64 v[151:152], v[46:47], s[4:5]
	v_mul_f64 v[153:154], v[48:49], s[6:7]
	v_mul_f64 v[155:156], v[54:55], -0.5
	v_mul_f64 v[157:158], v[44:45], -0.5
	;; [unrolled: 4-line block ×3, first 2 shown]
	v_fma_f64 v[66:67], v[121:122], 0.5, v[66:67]
	v_fma_f64 v[68:69], v[115:116], 0.5, v[68:69]
	v_fma_f64 v[62:63], v[111:112], s[4:5], v[62:63]
	v_fma_f64 v[64:65], v[137:138], s[6:7], v[64:65]
	v_fma_f64 v[70:71], v[123:124], 0.5, v[70:71]
	v_fma_f64 v[72:73], v[76:77], 0.5, v[72:73]
	v_fma_f64 v[76:77], v[113:114], s[4:5], v[78:79]
	v_fma_f64 v[78:79], v[119:120], s[6:7], v[80:81]
	v_fma_f64 v[131:132], v[173:174], s[4:5], v[92:93]
	v_fma_f64 v[80:81], v[52:53], 0.5, v[82:83]
	v_fma_f64 v[82:83], v[42:43], 0.5, v[104:105]
	v_fma_f64 v[92:93], v[173:174], s[6:7], v[92:93]
	;; [unrolled: 5-line block ×3, first 2 shown]
	v_fma_f64 v[119:120], v[54:55], s[6:7], v[157:158]
	s_barrier
	buffer_gl0_inv
	ds_write_b128 v219, v[0:3]
	ds_write_b128 v219, v[4:7] offset:4320
	v_fma_f64 v[121:122], v[58:59], 0.5, v[159:160]
	v_fma_f64 v[123:124], v[56:57], 0.5, v[161:162]
	v_fma_f64 v[137:138], v[60:61], s[4:5], v[163:164]
	v_fma_f64 v[149:150], v[50:51], s[6:7], v[165:166]
	v_add_f64 v[0:1], v[127:128], v[66:67]
	v_add_f64 v[2:3], v[135:136], v[68:69]
	v_add_f64 v[40:41], v[84:85], v[62:63]
	v_add_f64 v[42:43], v[86:87], v[64:65]
	v_add_f64 v[4:5], v[127:128], -v[66:67]
	v_add_f64 v[6:7], v[135:136], -v[68:69]
	v_add_f64 v[44:45], v[84:85], -v[62:63]
	v_add_f64 v[46:47], v[86:87], -v[64:65]
	v_add_f64 v[48:49], v[125:126], v[70:71]
	v_add_f64 v[50:51], v[129:130], v[72:73]
	v_add_f64 v[56:57], v[88:89], v[76:77]
	v_add_f64 v[58:59], v[90:91], v[78:79]
	v_add_f64 v[52:53], v[125:126], -v[70:71]
	v_add_f64 v[54:55], v[129:130], -v[72:73]
	v_add_f64 v[60:61], v[88:89], -v[76:77]
	v_add_f64 v[62:63], v[90:91], -v[78:79]
	;; [unrolled: 8-line block ×4, first 2 shown]
	v_add_f64 v[96:97], v[133:134], v[121:122]
	v_add_f64 v[98:99], v[143:144], v[123:124]
	v_add_f64 v[104:105], v[133:134], -v[121:122]
	v_add_f64 v[106:107], v[143:144], -v[123:124]
	v_add_f64 v[111:112], v[145:146], v[137:138]
	v_add_f64 v[113:114], v[147:148], v[149:150]
	v_add_f64 v[115:116], v[145:146], -v[137:138]
	v_add_f64 v[117:118], v[147:148], -v[149:150]
	ds_write_b128 v219, v[0:3] offset:1440
	ds_write_b128 v219, v[40:43] offset:2880
	ds_write_b128 v219, v[4:7] offset:5760
	ds_write_b128 v219, v[44:47] offset:7200
	ds_write_b128 v242, v[8:11]
	ds_write_b128 v242, v[48:51] offset:1440
	ds_write_b128 v242, v[56:59] offset:2880
	ds_write_b128 v242, v[12:15] offset:4320
	ds_write_b128 v242, v[52:55] offset:5760
	ds_write_b128 v242, v[60:63] offset:7200
	ds_write_b128 v221, v[16:19]
	ds_write_b128 v221, v[64:67] offset:1440
	;; [unrolled: 6-line block ×4, first 2 shown]
	ds_write_b128 v241, v[111:114] offset:2880
	ds_write_b128 v241, v[36:39] offset:4320
	;; [unrolled: 1-line block ×4, first 2 shown]
	s_waitcnt lgkmcnt(0)
	s_barrier
	buffer_gl0_inv
	s_clause 0x1
	global_load_dwordx4 v[0:3], v[100:101], off offset:400
	global_load_dwordx4 v[4:7], v[102:103], off offset:16
	v_add_co_u32 v20, s0, 0x4000, v109
	v_add_co_ci_u32_e64 v21, s0, 0, v110, s0
	v_add_co_u32 v22, s0, 0x4350, v109
	v_add_co_ci_u32_e64 v23, s0, 0, v110, s0
	v_add_co_u32 v32, s0, 0x6000, v109
	s_clause 0x2
	global_load_dwordx4 v[16:19], v[102:103], off offset:32
	global_load_dwordx4 v[12:15], v[102:103], off offset:48
	;; [unrolled: 1-line block ×3, first 2 shown]
	v_add_co_ci_u32_e64 v33, s0, 0, v110, s0
	s_clause 0x3
	global_load_dwordx4 v[72:75], v[20:21], off offset:848
	global_load_dwordx4 v[68:71], v[22:23], off offset:16
	;; [unrolled: 1-line block ×4, first 2 shown]
	v_add_co_u32 v22, s0, 0x6510, v109
	v_add_co_ci_u32_e64 v23, s0, 0, v110, s0
	v_add_co_u32 v76, s0, 0x8000, v109
	v_add_nc_u32_e32 v48, 0x8700, v108
	v_add_co_ci_u32_e64 v77, s0, 0, v110, s0
	v_add_co_u32 v64, s0, 0x86d0, v109
	v_add_co_ci_u32_e64 v65, s0, 0, v110, s0
	v_add_co_u32 v78, s0, s8, v48
	v_add_co_ci_u32_e64 v79, null, s9, 0, s0
	s_clause 0x1
	global_load_dwordx4 v[44:47], v[20:21], off offset:912
	global_load_dwordx4 v[24:27], v[32:33], off offset:1296
	v_add_co_u32 v84, s0, 0x2190, v78
	v_add_co_ci_u32_e64 v85, s0, 0, v79, s0
	v_add_co_u32 v96, s0, 0x2000, v78
	v_add_co_ci_u32_e64 v97, s0, 0, v79, s0
	s_clause 0xd
	global_load_dwordx4 v[40:43], v[22:23], off offset:16
	global_load_dwordx4 v[28:31], v[22:23], off offset:32
	;; [unrolled: 1-line block ×14, first 2 shown]
	ds_read_b128 v[136:139], v230 offset:17280
	ds_read_b128 v[116:119], v230 offset:34560
	;; [unrolled: 1-line block ×25, first 2 shown]
	ds_read_b128 v[128:131], v230
	ds_read_b128 v[208:211], v230 offset:1728
	ds_read_b128 v[204:207], v230 offset:3456
	;; [unrolled: 1-line block ×4, first 2 shown]
	s_waitcnt vmcnt(0) lgkmcnt(0)
	s_barrier
	buffer_gl0_inv
	v_mul_f64 v[226:227], v[166:167], v[2:3]
	v_mul_f64 v[2:3], v[164:165], v[2:3]
	;; [unrolled: 1-line block ×13, first 2 shown]
	v_fma_f64 v[164:165], v[164:165], v[0:1], -v[226:227]
	v_fma_f64 v[0:1], v[166:167], v[0:1], v[2:3]
	v_mul_f64 v[2:3], v[140:141], v[70:71]
	v_mul_f64 v[70:71], v[106:107], v[62:63]
	;; [unrolled: 1-line block ×4, first 2 shown]
	v_fma_f64 v[136:137], v[136:137], v[4:5], -v[228:229]
	v_fma_f64 v[4:5], v[138:139], v[4:5], v[6:7]
	v_mul_f64 v[6:7], v[132:133], v[58:59]
	v_mul_f64 v[58:59], v[102:103], v[46:47]
	;; [unrolled: 1-line block ×4, first 2 shown]
	v_fma_f64 v[156:157], v[156:157], v[16:17], -v[231:232]
	v_fma_f64 v[16:17], v[158:159], v[16:17], v[18:19]
	v_mul_f64 v[18:19], v[148:149], v[26:27]
	v_fma_f64 v[116:117], v[116:117], v[12:13], -v[233:234]
	v_fma_f64 v[12:13], v[118:119], v[12:13], v[14:15]
	v_fma_f64 v[144:145], v[144:145], v[8:9], -v[235:236]
	v_mul_f64 v[26:27], v[114:115], v[42:43]
	v_mul_f64 v[42:43], v[112:113], v[42:43]
	;; [unrolled: 1-line block ×7, first 2 shown]
	v_fma_f64 v[8:9], v[146:147], v[8:9], v[10:11]
	v_mul_f64 v[10:11], v[200:201], v[34:35]
	v_mul_f64 v[34:35], v[122:123], v[22:23]
	;; [unrolled: 1-line block ×4, first 2 shown]
	v_fma_f64 v[108:109], v[108:109], v[72:73], -v[237:238]
	v_fma_f64 v[72:73], v[110:111], v[72:73], v[74:75]
	v_mul_f64 v[74:75], v[154:155], v[50:51]
	v_mul_f64 v[54:55], v[168:169], v[54:55]
	;; [unrolled: 1-line block ×4, first 2 shown]
	v_fma_f64 v[140:141], v[140:141], v[68:69], -v[239:240]
	v_fma_f64 v[2:3], v[142:143], v[68:69], v[2:3]
	v_mul_f64 v[68:69], v[174:175], v[94:95]
	v_fma_f64 v[70:71], v[104:105], v[60:61], -v[70:71]
	v_fma_f64 v[60:61], v[106:107], v[60:61], v[62:63]
	v_mul_f64 v[104:105], v[194:195], v[78:79]
	;; [unrolled: 3-line block ×3, first 2 shown]
	v_mul_f64 v[78:79], v[186:187], v[86:87]
	v_mul_f64 v[66:67], v[180:181], v[66:67]
	;; [unrolled: 1-line block ×8, first 2 shown]
	v_fma_f64 v[58:59], v[100:101], v[44:45], -v[58:59]
	v_fma_f64 v[44:45], v[102:103], v[44:45], v[46:47]
	v_mul_f64 v[46:47], v[196:197], v[98:99]
	v_mul_f64 v[94:95], v[172:173], v[94:95]
	v_fma_f64 v[98:99], v[148:149], v[24:25], -v[138:139]
	v_fma_f64 v[18:19], v[150:151], v[24:25], v[18:19]
	v_fma_f64 v[24:25], v[112:113], v[40:41], -v[26:27]
	v_fma_f64 v[26:27], v[114:115], v[40:41], v[42:43]
	;; [unrolled: 2-line block ×5, first 2 shown]
	v_fma_f64 v[32:33], v[168:169], v[52:53], -v[146:147]
	v_fma_f64 v[34:35], v[120:121], v[20:21], -v[34:35]
	v_fma_f64 v[20:21], v[122:123], v[20:21], v[22:23]
	v_fma_f64 v[22:23], v[152:153], v[48:49], -v[74:75]
	v_fma_f64 v[38:39], v[170:171], v[52:53], v[54:55]
	v_fma_f64 v[42:43], v[180:181], v[64:65], -v[110:111]
	v_fma_f64 v[54:55], v[172:173], v[92:93], -v[68:69]
	v_fma_f64 v[48:49], v[154:155], v[48:49], v[50:51]
	v_fma_f64 v[74:75], v[192:193], v[76:77], -v[104:105]
	v_fma_f64 v[56:57], v[194:195], v[76:77], v[56:57]
	;; [unrolled: 2-line block ×4, first 2 shown]
	v_fma_f64 v[78:79], v[186:187], v[84:85], v[86:87]
	v_fma_f64 v[80:81], v[196:197], v[96:97], -v[132:133]
	v_fma_f64 v[46:47], v[198:199], v[96:97], v[46:47]
	v_fma_f64 v[64:65], v[174:175], v[92:93], v[94:95]
	;; [unrolled: 1-line block ×3, first 2 shown]
	v_add_f64 v[84:85], v[4:5], v[12:13]
	v_add_f64 v[90:91], v[24:25], v[28:29]
	;; [unrolled: 1-line block ×11, first 2 shown]
	v_add_f64 v[146:147], v[4:5], -v[12:13]
	v_add_f64 v[4:5], v[156:157], v[144:145]
	v_add_f64 v[150:151], v[16:17], v[8:9]
	v_add_f64 v[152:153], v[16:17], -v[8:9]
	v_add_f64 v[16:17], v[72:73], v[60:61]
	v_add_f64 v[154:155], v[98:99], v[40:41]
	;; [unrolled: 1-line block ×3, first 2 shown]
	v_add_f64 v[162:163], v[24:25], -v[28:29]
	v_add_f64 v[24:25], v[34:35], v[22:23]
	v_fma_f64 v[66:67], v[188:189], v[88:89], -v[142:143]
	v_add_f64 v[94:95], v[32:33], v[42:43]
	v_add_f64 v[126:127], v[214:215], v[38:39]
	v_add_f64 v[132:133], v[216:217], v[54:55]
	v_add_f64 v[168:169], v[14:15], v[10:11]
	v_add_f64 v[170:171], v[14:15], -v[10:11]
	v_add_f64 v[14:15], v[20:21], v[48:49]
	v_add_f64 v[172:173], v[32:33], -v[42:43]
	v_add_f64 v[32:33], v[74:75], v[76:77]
	v_add_f64 v[142:143], v[108:109], v[70:71]
	;; [unrolled: 1-line block ×3, first 2 shown]
	v_add_f64 v[148:149], v[156:157], -v[144:145]
	v_add_f64 v[156:157], v[2:3], -v[6:7]
	v_add_f64 v[2:3], v[70:71], v[58:59]
	v_add_f64 v[158:159], v[60:61], v[44:45]
	;; [unrolled: 1-line block ×3, first 2 shown]
	v_add_f64 v[166:167], v[26:27], -v[30:31]
	v_add_f64 v[26:27], v[40:41], v[36:37]
	v_add_f64 v[96:97], v[38:39], v[52:53]
	v_add_f64 v[174:175], v[38:39], -v[52:53]
	v_add_f64 v[38:39], v[22:23], v[50:51]
	v_add_f64 v[176:177], v[22:23], -v[50:51]
	v_add_f64 v[22:23], v[48:49], v[68:69]
	v_add_f64 v[180:181], v[78:79], v[46:47]
	;; [unrolled: 1-line block ×6, first 2 shown]
	v_add_f64 v[136:137], v[136:137], -v[116:117]
	v_add_f64 v[140:141], v[140:141], -v[106:107]
	;; [unrolled: 1-line block ×4, first 2 shown]
	v_add_f64 v[104:105], v[104:105], v[116:117]
	v_add_f64 v[12:13], v[110:111], v[12:13]
	;; [unrolled: 1-line block ×13, first 2 shown]
	v_fma_f64 v[114:115], v[150:151], -0.5, v[0:1]
	v_fma_f64 v[116:117], v[4:5], -0.5, v[164:165]
	v_add_f64 v[100:101], v[54:55], v[66:67]
	v_add_f64 v[48:49], v[48:49], -v[68:69]
	v_add_f64 v[54:55], v[54:55], -v[66:67]
	;; [unrolled: 1-line block ×3, first 2 shown]
	v_add_f64 v[52:53], v[126:127], v[52:53]
	v_add_f64 v[68:69], v[14:15], v[68:69]
	;; [unrolled: 1-line block ×4, first 2 shown]
	v_add_f64 v[70:71], v[70:71], -v[58:59]
	v_add_f64 v[58:59], v[142:143], v[58:59]
	v_fma_f64 v[72:73], v[158:159], -0.5, v[72:73]
	v_fma_f64 v[108:109], v[2:3], -0.5, v[108:109]
	v_fma_f64 v[118:119], v[168:169], -0.5, v[18:19]
	v_fma_f64 v[98:99], v[26:27], -0.5, v[98:99]
	v_fma_f64 v[120:121], v[22:23], -0.5, v[20:21]
	v_fma_f64 v[122:123], v[38:39], -0.5, v[34:35]
	v_add_f64 v[178:179], v[56:57], v[78:79]
	v_add_f64 v[78:79], v[78:79], -v[46:47]
	v_fma_f64 v[56:57], v[180:181], -0.5, v[56:57]
	v_fma_f64 v[74:75], v[182:183], -0.5, v[74:75]
	;; [unrolled: 1-line block ×3, first 2 shown]
	v_add_f64 v[134:135], v[218:219], v[64:65]
	v_add_f64 v[0:1], v[104:105], v[110:111]
	v_add_f64 v[2:3], v[12:13], v[8:9]
	v_add_f64 v[10:11], v[112:113], v[16:17]
	v_add_f64 v[14:15], v[112:113], -v[16:17]
	v_add_f64 v[16:17], v[28:29], v[36:37]
	v_add_f64 v[18:19], v[30:31], v[44:45]
	v_add_f64 v[20:21], v[28:29], -v[36:37]
	v_add_f64 v[22:23], v[30:31], -v[44:45]
	v_add_f64 v[24:25], v[42:43], v[50:51]
	v_add_f64 v[28:29], v[42:43], -v[50:51]
	v_fma_f64 v[42:43], v[148:149], s[6:7], v[114:115]
	v_fma_f64 v[44:45], v[152:153], s[4:5], v[116:117]
	v_add_f64 v[4:5], v[104:105], -v[110:111]
	v_add_f64 v[6:7], v[12:13], -v[8:9]
	v_add_f64 v[26:27], v[52:53], v[68:69]
	v_add_f64 v[30:31], v[52:53], -v[68:69]
	v_add_f64 v[32:33], v[66:67], v[80:81]
	v_add_f64 v[36:37], v[66:67], -v[80:81]
	v_fma_f64 v[52:53], v[152:153], s[6:7], v[116:117]
	v_fma_f64 v[66:67], v[148:149], s[4:5], v[114:115]
	v_add_f64 v[8:9], v[106:107], v[58:59]
	v_add_f64 v[12:13], v[106:107], -v[58:59]
	v_fma_f64 v[68:69], v[70:71], s[6:7], v[72:73]
	v_fma_f64 v[80:81], v[60:61], s[4:5], v[108:109]
	;; [unrolled: 1-line block ×8, first 2 shown]
	v_add_f64 v[64:65], v[64:65], -v[62:63]
	v_fma_f64 v[100:101], v[100:101], -0.5, v[216:217]
	v_fma_f64 v[110:111], v[176:177], s[6:7], v[120:121]
	v_fma_f64 v[112:113], v[48:49], s[4:5], v[122:123]
	;; [unrolled: 1-line block ×10, first 2 shown]
	v_fma_f64 v[82:83], v[82:83], -0.5, v[128:129]
	v_fma_f64 v[84:85], v[84:85], -0.5, v[130:131]
	v_add_f64 v[62:63], v[134:135], v[62:63]
	v_add_f64 v[46:47], v[178:179], v[46:47]
	ds_write_b128 v230, v[0:3]
	ds_write_b128 v230, v[4:7] offset:25920
	ds_write_b128 v230, v[8:11] offset:1728
	;; [unrolled: 1-line block ×3, first 2 shown]
	v_mul_f64 v[0:1], v[42:43], s[4:5]
	v_mul_f64 v[2:3], v[44:45], s[6:7]
	v_mul_f64 v[4:5], v[52:53], -0.5
	v_mul_f64 v[6:7], v[66:67], -0.5
	v_fma_f64 v[86:87], v[86:87], -0.5, v[208:209]
	v_fma_f64 v[88:89], v[88:89], -0.5, v[210:211]
	v_mul_f64 v[8:9], v[68:69], s[4:5]
	v_mul_f64 v[10:11], v[80:81], s[6:7]
	v_mul_f64 v[12:13], v[60:61], -0.5
	v_mul_f64 v[14:15], v[70:71], -0.5
	v_fma_f64 v[90:91], v[90:91], -0.5, v[204:205]
	v_fma_f64 v[92:93], v[92:93], -0.5, v[206:207]
	ds_write_b128 v230, v[16:19] offset:3456
	ds_write_b128 v230, v[20:23] offset:29376
	v_mul_f64 v[16:17], v[72:73], s[4:5]
	v_mul_f64 v[18:19], v[104:105], s[6:7]
	v_mul_f64 v[20:21], v[98:99], -0.5
	v_mul_f64 v[22:23], v[40:41], -0.5
	v_fma_f64 v[94:95], v[94:95], -0.5, v[212:213]
	v_fma_f64 v[96:97], v[96:97], -0.5, v[214:215]
	v_fma_f64 v[124:125], v[64:65], s[4:5], v[100:101]
	v_fma_f64 v[100:101], v[64:65], s[6:7], v[100:101]
	v_mul_f64 v[56:57], v[110:111], s[4:5]
	v_mul_f64 v[64:65], v[112:113], s[6:7]
	v_mul_f64 v[76:77], v[48:49], -0.5
	v_mul_f64 v[78:79], v[118:119], -0.5
	v_mul_f64 v[128:129], v[120:121], s[4:5]
	v_mul_f64 v[130:131], v[122:123], s[6:7]
	v_mul_f64 v[132:133], v[74:75], -0.5
	v_mul_f64 v[134:135], v[54:55], -0.5
	v_add_f64 v[34:35], v[62:63], v[46:47]
	v_add_f64 v[38:39], v[62:63], -v[46:47]
	v_fma_f64 v[46:47], v[146:147], s[4:5], v[82:83]
	v_fma_f64 v[50:51], v[136:137], s[6:7], v[84:85]
	v_fma_f64 v[44:45], v[44:45], 0.5, v[0:1]
	v_fma_f64 v[42:43], v[42:43], 0.5, v[2:3]
	v_fma_f64 v[58:59], v[146:147], s[6:7], v[82:83]
	v_fma_f64 v[62:63], v[136:137], s[4:5], v[84:85]
	ds_write_b128 v230, v[24:27] offset:5184
	ds_write_b128 v230, v[28:31] offset:31104
	v_fma_f64 v[24:25], v[66:67], s[4:5], v[4:5]
	v_fma_f64 v[26:27], v[52:53], s[6:7], v[6:7]
	v_fma_f64 v[82:83], v[156:157], s[4:5], v[86:87]
	v_fma_f64 v[84:85], v[140:141], s[6:7], v[88:89]
	v_fma_f64 v[28:29], v[80:81], 0.5, v[8:9]
	v_fma_f64 v[30:31], v[68:69], 0.5, v[10:11]
	v_fma_f64 v[86:87], v[156:157], s[6:7], v[86:87]
	v_fma_f64 v[88:89], v[140:141], s[4:5], v[88:89]
	v_fma_f64 v[52:53], v[70:71], s[4:5], v[12:13]
	v_fma_f64 v[60:61], v[60:61], s[6:7], v[14:15]
	v_fma_f64 v[106:107], v[166:167], s[4:5], v[90:91]
	v_fma_f64 v[108:109], v[162:163], s[6:7], v[92:93]
	v_fma_f64 v[66:67], v[104:105], 0.5, v[16:17]
	v_fma_f64 v[68:69], v[72:73], 0.5, v[18:19]
	v_fma_f64 v[90:91], v[166:167], s[6:7], v[90:91]
	v_fma_f64 v[92:93], v[162:163], s[4:5], v[92:93]
	;; [unrolled: 8-line block ×3, first 2 shown]
	v_fma_f64 v[76:77], v[118:119], s[4:5], v[76:77]
	v_fma_f64 v[78:79], v[48:49], s[6:7], v[78:79]
	v_fma_f64 v[98:99], v[122:123], 0.5, v[128:129]
	v_fma_f64 v[104:105], v[120:121], 0.5, v[130:131]
	v_fma_f64 v[110:111], v[54:55], s[4:5], v[132:133]
	v_fma_f64 v[112:113], v[74:75], s[6:7], v[134:135]
	v_add_f64 v[0:1], v[46:47], v[44:45]
	v_add_f64 v[2:3], v[50:51], v[42:43]
	v_add_f64 v[8:9], v[58:59], v[24:25]
	v_add_f64 v[10:11], v[62:63], v[26:27]
	v_add_f64 v[4:5], v[46:47], -v[44:45]
	v_add_f64 v[6:7], v[50:51], -v[42:43]
	v_add_f64 v[12:13], v[58:59], -v[24:25]
	v_add_f64 v[14:15], v[62:63], -v[26:27]
	v_add_f64 v[16:17], v[82:83], v[28:29]
	v_add_f64 v[18:19], v[84:85], v[30:31]
	v_add_f64 v[24:25], v[86:87], v[52:53]
	v_add_f64 v[26:27], v[88:89], v[60:61]
	v_add_f64 v[20:21], v[82:83], -v[28:29]
	v_add_f64 v[22:23], v[84:85], -v[30:31]
	v_add_f64 v[28:29], v[86:87], -v[52:53]
	v_add_f64 v[30:31], v[88:89], -v[60:61]
	;; [unrolled: 8-line block ×3, first 2 shown]
	v_add_f64 v[56:57], v[114:115], v[80:81]
	v_add_f64 v[58:59], v[116:117], v[64:65]
	v_add_f64 v[62:63], v[116:117], -v[64:65]
	v_add_f64 v[64:65], v[94:95], v[76:77]
	v_add_f64 v[66:67], v[96:97], v[78:79]
	v_add_f64 v[60:61], v[114:115], -v[80:81]
	v_add_f64 v[68:69], v[94:95], -v[76:77]
	;; [unrolled: 1-line block ×3, first 2 shown]
	v_add_f64 v[72:73], v[124:125], v[98:99]
	v_add_f64 v[74:75], v[126:127], v[104:105]
	;; [unrolled: 1-line block ×4, first 2 shown]
	v_add_f64 v[76:77], v[124:125], -v[98:99]
	v_add_f64 v[78:79], v[126:127], -v[104:105]
	;; [unrolled: 1-line block ×4, first 2 shown]
	ds_write_b128 v230, v[32:35] offset:6912
	ds_write_b128 v230, v[36:39] offset:32832
	;; [unrolled: 1-line block ×22, first 2 shown]
	s_waitcnt lgkmcnt(0)
	s_barrier
	buffer_gl0_inv
	s_and_saveexec_b32 s0, vcc_lo
	s_cbranch_execz .LBB0_19
; %bb.18:
	v_lshl_add_u32 v30, v220, 4, 0
	v_mov_b32_e32 v221, v225
	v_add_nc_u32_e32 v224, 0x6c, v220
	v_add_co_u32 v31, vcc_lo, s2, v222
	ds_read_b128 v[0:3], v30
	v_lshlrev_b64 v[18:19], 4, v[220:221]
	v_add_co_ci_u32_e32 v32, vcc_lo, s3, v223, vcc_lo
	v_lshlrev_b64 v[16:17], 4, v[224:225]
	v_add_nc_u32_e32 v224, 0xd8, v220
	ds_read_b128 v[4:7], v30 offset:1728
	ds_read_b128 v[8:11], v30 offset:3456
	ds_read_b128 v[12:15], v30 offset:50112
	v_add_co_u32 v18, vcc_lo, v31, v18
	v_add_co_ci_u32_e32 v19, vcc_lo, v32, v19, vcc_lo
	v_add_co_u32 v22, vcc_lo, v31, v16
	v_lshlrev_b64 v[20:21], 4, v[224:225]
	v_add_nc_u32_e32 v224, 0x144, v220
	v_add_co_ci_u32_e32 v23, vcc_lo, v32, v17, vcc_lo
	v_lshlrev_b64 v[24:25], 4, v[224:225]
	s_waitcnt lgkmcnt(3)
	global_store_dwordx4 v[18:19], v[0:3], off
	ds_read_b128 v[0:3], v30 offset:5184
	ds_read_b128 v[16:19], v30 offset:6912
	v_add_nc_u32_e32 v224, 0x1b0, v220
	v_add_co_u32 v20, vcc_lo, v31, v20
	v_add_co_ci_u32_e32 v21, vcc_lo, v32, v21, vcc_lo
	v_lshlrev_b64 v[26:27], 4, v[224:225]
	v_add_nc_u32_e32 v224, 0x21c, v220
	v_add_co_u32 v24, vcc_lo, v31, v24
	v_add_co_ci_u32_e32 v25, vcc_lo, v32, v25, vcc_lo
	v_add_co_u32 v26, vcc_lo, v31, v26
	v_lshlrev_b64 v[28:29], 4, v[224:225]
	v_add_nc_u32_e32 v224, 0x288, v220
	v_add_co_ci_u32_e32 v27, vcc_lo, v32, v27, vcc_lo
	s_waitcnt lgkmcnt(4)
	global_store_dwordx4 v[22:23], v[4:7], off
	s_waitcnt lgkmcnt(3)
	global_store_dwordx4 v[20:21], v[8:11], off
	;; [unrolled: 2-line block ×4, first 2 shown]
	v_lshlrev_b64 v[20:21], 4, v[224:225]
	v_add_nc_u32_e32 v224, 0x2f4, v220
	ds_read_b128 v[0:3], v30 offset:8640
	ds_read_b128 v[4:7], v30 offset:10368
	;; [unrolled: 1-line block ×4, first 2 shown]
	v_add_co_u32 v22, vcc_lo, v31, v28
	v_lshlrev_b64 v[24:25], 4, v[224:225]
	v_add_nc_u32_e32 v224, 0x360, v220
	v_add_co_ci_u32_e32 v23, vcc_lo, v32, v29, vcc_lo
	v_add_co_u32 v20, vcc_lo, v31, v20
	v_lshlrev_b64 v[26:27], 4, v[224:225]
	v_add_nc_u32_e32 v224, 0x3cc, v220
	v_add_co_ci_u32_e32 v21, vcc_lo, v32, v21, vcc_lo
	v_add_co_u32 v24, vcc_lo, v31, v24
	v_add_co_ci_u32_e32 v25, vcc_lo, v32, v25, vcc_lo
	v_add_co_u32 v26, vcc_lo, v31, v26
	v_lshlrev_b64 v[28:29], 4, v[224:225]
	v_add_nc_u32_e32 v224, 0x438, v220
	v_add_co_ci_u32_e32 v27, vcc_lo, v32, v27, vcc_lo
	s_waitcnt lgkmcnt(3)
	global_store_dwordx4 v[22:23], v[0:3], off
	s_waitcnt lgkmcnt(2)
	global_store_dwordx4 v[20:21], v[4:7], off
	s_waitcnt lgkmcnt(1)
	global_store_dwordx4 v[24:25], v[8:11], off
	s_waitcnt lgkmcnt(0)
	global_store_dwordx4 v[26:27], v[16:19], off
	ds_read_b128 v[0:3], v30 offset:15552
	ds_read_b128 v[4:7], v30 offset:17280
	v_lshlrev_b64 v[20:21], 4, v[224:225]
	v_add_nc_u32_e32 v224, 0x4a4, v220
	ds_read_b128 v[8:11], v30 offset:19008
	ds_read_b128 v[16:19], v30 offset:20736
	v_add_co_u32 v22, vcc_lo, v31, v28
	v_add_co_ci_u32_e32 v23, vcc_lo, v32, v29, vcc_lo
	v_lshlrev_b64 v[24:25], 4, v[224:225]
	v_add_nc_u32_e32 v224, 0x510, v220
	v_add_co_u32 v20, vcc_lo, v31, v20
	v_add_co_ci_u32_e32 v21, vcc_lo, v32, v21, vcc_lo
	v_lshlrev_b64 v[26:27], 4, v[224:225]
	v_add_nc_u32_e32 v224, 0x57c, v220
	v_add_co_u32 v24, vcc_lo, v31, v24
	v_add_co_ci_u32_e32 v25, vcc_lo, v32, v25, vcc_lo
	v_add_co_u32 v26, vcc_lo, v31, v26
	v_lshlrev_b64 v[28:29], 4, v[224:225]
	v_add_nc_u32_e32 v224, 0x5e8, v220
	v_add_co_ci_u32_e32 v27, vcc_lo, v32, v27, vcc_lo
	s_waitcnt lgkmcnt(3)
	global_store_dwordx4 v[22:23], v[0:3], off
	s_waitcnt lgkmcnt(2)
	global_store_dwordx4 v[20:21], v[4:7], off
	s_waitcnt lgkmcnt(1)
	global_store_dwordx4 v[24:25], v[8:11], off
	s_waitcnt lgkmcnt(0)
	global_store_dwordx4 v[26:27], v[16:19], off
	ds_read_b128 v[0:3], v30 offset:22464
	ds_read_b128 v[4:7], v30 offset:24192
	v_lshlrev_b64 v[20:21], 4, v[224:225]
	v_add_nc_u32_e32 v224, 0x654, v220
	ds_read_b128 v[8:11], v30 offset:25920
	ds_read_b128 v[16:19], v30 offset:27648
	v_add_co_u32 v22, vcc_lo, v31, v28
	v_add_co_ci_u32_e32 v23, vcc_lo, v32, v29, vcc_lo
	v_lshlrev_b64 v[24:25], 4, v[224:225]
	v_add_nc_u32_e32 v224, 0x6c0, v220
	v_add_co_u32 v20, vcc_lo, v31, v20
	v_add_co_ci_u32_e32 v21, vcc_lo, v32, v21, vcc_lo
	v_lshlrev_b64 v[26:27], 4, v[224:225]
	v_add_nc_u32_e32 v224, 0x72c, v220
	;; [unrolled: 28-line block ×4, first 2 shown]
	v_add_co_u32 v24, vcc_lo, v31, v24
	v_add_co_ci_u32_e32 v25, vcc_lo, v32, v25, vcc_lo
	v_lshlrev_b64 v[28:29], 4, v[224:225]
	v_add_nc_u32_e32 v224, 0xaf8, v220
	v_add_co_u32 v26, vcc_lo, v31, v26
	v_add_co_ci_u32_e32 v27, vcc_lo, v32, v27, vcc_lo
	s_waitcnt lgkmcnt(3)
	global_store_dwordx4 v[22:23], v[0:3], off
	s_waitcnt lgkmcnt(2)
	global_store_dwordx4 v[20:21], v[4:7], off
	;; [unrolled: 2-line block ×4, first 2 shown]
	v_lshlrev_b64 v[20:21], 4, v[224:225]
	v_add_nc_u32_e32 v224, 0xb64, v220
	ds_read_b128 v[0:3], v30 offset:43200
	ds_read_b128 v[4:7], v30 offset:44928
	;; [unrolled: 1-line block ×4, first 2 shown]
	v_add_co_u32 v22, vcc_lo, v31, v28
	v_lshlrev_b64 v[24:25], 4, v[224:225]
	v_add_nc_u32_e32 v224, 0xbd0, v220
	v_add_co_ci_u32_e32 v23, vcc_lo, v32, v29, vcc_lo
	v_add_co_u32 v20, vcc_lo, v31, v20
	v_lshlrev_b64 v[26:27], 4, v[224:225]
	v_add_nc_u32_e32 v224, 0xc3c, v220
	v_add_co_ci_u32_e32 v21, vcc_lo, v32, v21, vcc_lo
	v_add_co_u32 v24, vcc_lo, v31, v24
	v_lshlrev_b64 v[28:29], 4, v[224:225]
	v_add_co_ci_u32_e32 v25, vcc_lo, v32, v25, vcc_lo
	v_add_co_u32 v26, vcc_lo, v31, v26
	v_add_co_ci_u32_e32 v27, vcc_lo, v32, v27, vcc_lo
	v_add_co_u32 v28, vcc_lo, v31, v28
	v_add_co_ci_u32_e32 v29, vcc_lo, v32, v29, vcc_lo
	s_waitcnt lgkmcnt(3)
	global_store_dwordx4 v[22:23], v[0:3], off
	s_waitcnt lgkmcnt(2)
	global_store_dwordx4 v[20:21], v[4:7], off
	s_waitcnt lgkmcnt(1)
	global_store_dwordx4 v[24:25], v[8:11], off
	s_waitcnt lgkmcnt(0)
	global_store_dwordx4 v[26:27], v[16:19], off
	global_store_dwordx4 v[28:29], v[12:15], off
.LBB0_19:
	s_endpgm
	.section	.rodata,"a",@progbits
	.p2align	6, 0x0
	.amdhsa_kernel fft_rtc_fwd_len3240_factors_3_3_10_6_6_wgs_108_tpt_108_halfLds_dp_ip_CI_unitstride_sbrr_C2R_dirReg
		.amdhsa_group_segment_fixed_size 0
		.amdhsa_private_segment_fixed_size 0
		.amdhsa_kernarg_size 88
		.amdhsa_user_sgpr_count 6
		.amdhsa_user_sgpr_private_segment_buffer 1
		.amdhsa_user_sgpr_dispatch_ptr 0
		.amdhsa_user_sgpr_queue_ptr 0
		.amdhsa_user_sgpr_kernarg_segment_ptr 1
		.amdhsa_user_sgpr_dispatch_id 0
		.amdhsa_user_sgpr_flat_scratch_init 0
		.amdhsa_user_sgpr_private_segment_size 0
		.amdhsa_wavefront_size32 1
		.amdhsa_uses_dynamic_stack 0
		.amdhsa_system_sgpr_private_segment_wavefront_offset 0
		.amdhsa_system_sgpr_workgroup_id_x 1
		.amdhsa_system_sgpr_workgroup_id_y 0
		.amdhsa_system_sgpr_workgroup_id_z 0
		.amdhsa_system_sgpr_workgroup_info 0
		.amdhsa_system_vgpr_workitem_id 0
		.amdhsa_next_free_vgpr 255
		.amdhsa_next_free_sgpr 22
		.amdhsa_reserve_vcc 1
		.amdhsa_reserve_flat_scratch 0
		.amdhsa_float_round_mode_32 0
		.amdhsa_float_round_mode_16_64 0
		.amdhsa_float_denorm_mode_32 3
		.amdhsa_float_denorm_mode_16_64 3
		.amdhsa_dx10_clamp 1
		.amdhsa_ieee_mode 1
		.amdhsa_fp16_overflow 0
		.amdhsa_workgroup_processor_mode 1
		.amdhsa_memory_ordered 1
		.amdhsa_forward_progress 0
		.amdhsa_shared_vgpr_count 0
		.amdhsa_exception_fp_ieee_invalid_op 0
		.amdhsa_exception_fp_denorm_src 0
		.amdhsa_exception_fp_ieee_div_zero 0
		.amdhsa_exception_fp_ieee_overflow 0
		.amdhsa_exception_fp_ieee_underflow 0
		.amdhsa_exception_fp_ieee_inexact 0
		.amdhsa_exception_int_div_zero 0
	.end_amdhsa_kernel
	.text
.Lfunc_end0:
	.size	fft_rtc_fwd_len3240_factors_3_3_10_6_6_wgs_108_tpt_108_halfLds_dp_ip_CI_unitstride_sbrr_C2R_dirReg, .Lfunc_end0-fft_rtc_fwd_len3240_factors_3_3_10_6_6_wgs_108_tpt_108_halfLds_dp_ip_CI_unitstride_sbrr_C2R_dirReg
                                        ; -- End function
	.section	.AMDGPU.csdata,"",@progbits
; Kernel info:
; codeLenInByte = 24692
; NumSgprs: 24
; NumVgprs: 255
; ScratchSize: 0
; MemoryBound: 0
; FloatMode: 240
; IeeeMode: 1
; LDSByteSize: 0 bytes/workgroup (compile time only)
; SGPRBlocks: 2
; VGPRBlocks: 31
; NumSGPRsForWavesPerEU: 24
; NumVGPRsForWavesPerEU: 255
; Occupancy: 4
; WaveLimiterHint : 1
; COMPUTE_PGM_RSRC2:SCRATCH_EN: 0
; COMPUTE_PGM_RSRC2:USER_SGPR: 6
; COMPUTE_PGM_RSRC2:TRAP_HANDLER: 0
; COMPUTE_PGM_RSRC2:TGID_X_EN: 1
; COMPUTE_PGM_RSRC2:TGID_Y_EN: 0
; COMPUTE_PGM_RSRC2:TGID_Z_EN: 0
; COMPUTE_PGM_RSRC2:TIDIG_COMP_CNT: 0
	.text
	.p2alignl 6, 3214868480
	.fill 48, 4, 3214868480
	.type	__hip_cuid_3b513521943d0cef,@object ; @__hip_cuid_3b513521943d0cef
	.section	.bss,"aw",@nobits
	.globl	__hip_cuid_3b513521943d0cef
__hip_cuid_3b513521943d0cef:
	.byte	0                               ; 0x0
	.size	__hip_cuid_3b513521943d0cef, 1

	.ident	"AMD clang version 19.0.0git (https://github.com/RadeonOpenCompute/llvm-project roc-6.4.0 25133 c7fe45cf4b819c5991fe208aaa96edf142730f1d)"
	.section	".note.GNU-stack","",@progbits
	.addrsig
	.addrsig_sym __hip_cuid_3b513521943d0cef
	.amdgpu_metadata
---
amdhsa.kernels:
  - .args:
      - .actual_access:  read_only
        .address_space:  global
        .offset:         0
        .size:           8
        .value_kind:     global_buffer
      - .offset:         8
        .size:           8
        .value_kind:     by_value
      - .actual_access:  read_only
        .address_space:  global
        .offset:         16
        .size:           8
        .value_kind:     global_buffer
      - .actual_access:  read_only
        .address_space:  global
        .offset:         24
        .size:           8
        .value_kind:     global_buffer
      - .offset:         32
        .size:           8
        .value_kind:     by_value
      - .actual_access:  read_only
        .address_space:  global
        .offset:         40
        .size:           8
        .value_kind:     global_buffer
      - .actual_access:  read_only
        .address_space:  global
        .offset:         48
        .size:           8
        .value_kind:     global_buffer
      - .offset:         56
        .size:           4
        .value_kind:     by_value
      - .actual_access:  read_only
        .address_space:  global
        .offset:         64
        .size:           8
        .value_kind:     global_buffer
      - .actual_access:  read_only
        .address_space:  global
        .offset:         72
        .size:           8
        .value_kind:     global_buffer
      - .address_space:  global
        .offset:         80
        .size:           8
        .value_kind:     global_buffer
    .group_segment_fixed_size: 0
    .kernarg_segment_align: 8
    .kernarg_segment_size: 88
    .language:       OpenCL C
    .language_version:
      - 2
      - 0
    .max_flat_workgroup_size: 108
    .name:           fft_rtc_fwd_len3240_factors_3_3_10_6_6_wgs_108_tpt_108_halfLds_dp_ip_CI_unitstride_sbrr_C2R_dirReg
    .private_segment_fixed_size: 0
    .sgpr_count:     24
    .sgpr_spill_count: 0
    .symbol:         fft_rtc_fwd_len3240_factors_3_3_10_6_6_wgs_108_tpt_108_halfLds_dp_ip_CI_unitstride_sbrr_C2R_dirReg.kd
    .uniform_work_group_size: 1
    .uses_dynamic_stack: false
    .vgpr_count:     255
    .vgpr_spill_count: 0
    .wavefront_size: 32
    .workgroup_processor_mode: 1
amdhsa.target:   amdgcn-amd-amdhsa--gfx1030
amdhsa.version:
  - 1
  - 2
...

	.end_amdgpu_metadata
